;; amdgpu-corpus repo=ROCm/aiter kind=harvested arch=n/a opt=n/a

/root/src/amdgpu-assembly/repos/ROCm__aiter/hsa/gfx950/bf16gemm/bf16gemm_fp32bf16_tn_64x64_pf3_splitk.co:	file format elf64-amdgpu

Disassembly of section .text:

0000000000002900 <_ZN5aiter37bf16gemm_fp32bf16_tn_64x64_pf3_splitkE>:
	s_mov_b32 s49, s4                                          // 000000002900: BEB10004
	s_and_b32 s1, s1, 0xffff                                   // 000000002904: 8601FF01 0000FFFF
	s_load_dword s25, s[0:1], 0xe0                             // 00000000290C: C0020640 000000E0
	s_load_dword s26, s[0:1], 0xf0                             // 000000002914: C0020680 000000F0
	s_load_dword s27, s[0:1], 0x100                            // 00000000291C: C00206C0 00000100
	s_load_dword s28, s[0:1], 0xa0                             // 000000002924: C0020700 000000A0
	s_load_dword s29, s[0:1], 0xc0                             // 00000000292C: C0020740 000000C0
	s_load_dword s30, s[0:1], 0x80                             // 000000002934: C0020780 00000080
	s_load_dword s20, s[0:1], 0x40                             // 00000000293C: C0020500 00000040
	s_load_dword s21, s[0:1], 0x50                             // 000000002944: C0020540 00000050
	s_load_dwordx2 s[4:5], s[0:1], 0x20                        // 00000000294C: C0060100 00000020
	s_load_dwordx2 s[8:9], s[0:1], 0x30                        // 000000002954: C0060200 00000030
	s_load_dwordx2 s[12:13], s[0:1], 0x10                      // 00000000295C: C0060300 00000010
	s_load_dwordx2 s[16:17], s[0:1], 0x0                       // 000000002964: C0060400 00000000
	s_load_dword s48, s[0:1], 0x110                            // 00000000296C: C0020C00 00000110
	s_load_dword s50, s[0:1], 0x120                            // 000000002974: C0020C80 00000120
	s_load_dwordx2 s[36:37], s[0:1], 0x130                     // 00000000297C: C0060900 00000130
	s_load_dword s57, s[0:1], 0x140                            // 000000002984: C0020E40 00000140
	v_lshrrev_b32_e32 v1, 10, v0                               // 00000000298C: 2002008A
	v_lshrrev_b32_e32 v2, 10, v1                               // 000000002990: 2004028A
	v_and_b32_e32 v2, 0x3ff, v2                                // 000000002994: 260404FF 000003FF
	v_and_b32_e32 v1, 0x3ff, v1                                // 00000000299C: 260202FF 000003FF
	v_and_b32_e32 v0, 0x3ff, v0                                // 0000000029A4: 260000FF 000003FF
	v_lshrrev_b32_e32 v3, 6, v0                                // 0000000029AC: 20060086
	v_and_b32_e32 v0, 63, v0                                   // 0000000029B0: 260000BF
	s_mov_b32 s22, s2                                          // 0000000029B4: BE960002
	s_mov_b32 s23, s3                                          // 0000000029B8: BE970003
	v_readfirstlane_b32 s24, v3                                // 0000000029BC: 7E300503
	s_waitcnt lgkmcnt(0)                                       // 0000000029C0: BF8CC07F
	s_mov_b32 s18, -16                                         // 0000000029C4: BE9200D0
	s_mov_b32 s14, -16                                         // 0000000029C8: BE8E00D0
	s_mov_b32 s10, -16                                         // 0000000029CC: BE8A00D0
	s_mov_b32 s6, -16                                          // 0000000029D0: BE8600D0
	s_mov_b32 s38, -16                                         // 0000000029D4: BEA600D0
	s_mov_b32 s19, 0x20000                                     // 0000000029D8: BE9300FF 00020000
	s_mov_b32 s15, 0x20000                                     // 0000000029E0: BE8F00FF 00020000
	s_mov_b32 s11, 0x20000                                     // 0000000029E8: BE8B00FF 00020000
	s_mov_b32 s7, 0x20000                                      // 0000000029F0: BE8700FF 00020000
	s_mov_b32 s39, 0x20000                                     // 0000000029F8: BEA700FF 00020000
	s_and_b32 s17, s17, 0xffff                                 // 000000002A00: 8611FF11 0000FFFF
	s_and_b32 s13, s13, 0xffff                                 // 000000002A08: 860DFF0D 0000FFFF
	s_and_b32 s9, s9, 0xffff                                   // 000000002A10: 8609FF09 0000FFFF
	s_and_b32 s5, s5, 0xffff                                   // 000000002A18: 8605FF05 0000FFFF
	s_and_b32 s37, s37, 0xffff                                 // 000000002A20: 8625FF25 0000FFFF
	s_or_b32 s17, s17, 0x40000                                 // 000000002A28: 8711FF11 00040000
	s_or_b32 s13, s13, 0x40000                                 // 000000002A30: 870DFF0D 00040000
	s_or_b32 s9, s9, 0x40000                                   // 000000002A38: 8709FF09 00040000
	s_or_b32 s5, s5, 0x40000                                   // 000000002A40: 8705FF05 00040000
	s_or_b32 s37, s37, 0x40000                                 // 000000002A48: 8725FF25 00040000
	s_mov_b32 s35, 0x7060302                                   // 000000002A50: BEA300FF 07060302
	v_mov_b32_e32 v9, 0xffff0000                               // 000000002A58: 7E1202FF FFFF0000
	v_mov_b32_e32 v10, 0x7fff0000                              // 000000002A60: 7E1402FF 7FFF0000
	v_mov_b32_e32 v11, 0x7fff                                  // 000000002A68: 7E1602FF 00007FFF
	s_mul_i32 s31, s28, s25                                    // 000000002A70: 921F191C
	s_mov_b32 s6, s31                                          // 000000002A74: BE86001F
	s_mov_b32 s40, 0x80                                        // 000000002A78: BEA800FF 00000080
	v_lshrrev_b32_e32 v4, 5, v0                                // 000000002A80: 20080085
	v_lshlrev_b32_e32 v4, 2, v4                                // 000000002A84: 24080882
	v_mul_lo_u32 v17, v4, s28                                  // 000000002A88: D2850011 00003904
	v_and_b32_e32 v4, 31, v0                                   // 000000002A90: 2608009F
	v_lshlrev_b32_e32 v4, 2, v4                                // 000000002A94: 24080882
	v_add_u32_e32 v17, v17, v4                                 // 000000002A98: 68220911
	s_mul_i32 s31, 8, s28                                      // 000000002A9C: 921F1C88
	v_add_u32_e64 v18, v17, s31                                // 000000002AA0: D1340012 00003F11
	v_add_u32_e64 v19, v18, s31                                // 000000002AA8: D1340013 00003F12
	v_add_u32_e64 v20, v19, s31                                // 000000002AB0: D1340014 00003F13
	v_add_u32_e64 v21, v20, s31                                // 000000002AB8: D1340015 00003F14
	v_add_u32_e64 v22, v21, s31                                // 000000002AC0: D1340016 00003F15
	v_add_u32_e64 v23, v22, s31                                // 000000002AC8: D1340017 00003F16
	v_add_u32_e64 v24, v23, s31                                // 000000002AD0: D1340018 00003F17
	s_mul_i32 s31, s23, 64                                     // 000000002AD8: 921FC017
	s_add_u32 s31, s31, s24                                    // 000000002ADC: 801F181F
	s_mul_i32 s32, s31, s28                                    // 000000002AE0: 92201C1F
	v_add_u32_e64 v17, v17, s32                                // 000000002AE4: D1340011 00004111
	v_add_u32_e64 v18, v18, s32                                // 000000002AEC: D1340012 00004112
	v_add_u32_e64 v19, v19, s32                                // 000000002AF4: D1340013 00004113
	v_add_u32_e64 v20, v20, s32                                // 000000002AFC: D1340014 00004114
	v_add_u32_e64 v21, v21, s32                                // 000000002B04: D1340015 00004115
	v_add_u32_e64 v22, v22, s32                                // 000000002B0C: D1340016 00004116
	v_add_u32_e64 v23, v23, s32                                // 000000002B14: D1340017 00004117
	v_add_u32_e64 v24, v24, s32                                // 000000002B1C: D1340018 00004118
	v_lshrrev_b32_e32 v4, 4, v0                                // 000000002B24: 20080084
	v_lshlrev_b32_e32 v5, 2, v4                                // 000000002B28: 240A0882
	v_and_b32_e32 v4, 15, v0                                   // 000000002B2C: 2608008F
	v_lshrrev_b32_e32 v6, 2, v4                                // 000000002B30: 200C0882
	v_lshlrev_b32_e32 v6, 5, v6                                // 000000002B34: 240C0C85
	v_add_u32_e32 v5, v6, v5                                   // 000000002B38: 680A0B06
	v_and_b32_e32 v4, 3, v0                                    // 000000002B3C: 26080083
	v_mul_u32_u24_e32 v6, 0x208, v4                            // 000000002B40: 100C08FF 00000208
	v_add_u32_e32 v5, v6, v5                                   // 000000002B48: 680A0B06
	v_lshlrev_b32_e32 v25, 2, v5                               // 000000002B4C: 24320A82
	s_mul_i32 s31, s24, 0x820                                  // 000000002B50: 921FFF18 00000820
	s_add_u32 s42, 0, s31                                      // 000000002B58: 802A1F80
	s_add_u32 s43, 0x2080, s42                                 // 000000002B5C: 802B2AFF 00002080
	s_add_u32 s44, 0x2080, s43                                 // 000000002B64: 802C2BFF 00002080
	s_mul_i32 s31, s29, s26                                    // 000000002B6C: 921F1A1D
	s_mov_b32 s10, s31                                         // 000000002B70: BE8A001F
	s_mov_b32 s41, 0x80                                        // 000000002B74: BEA900FF 00000080
	v_lshrrev_b32_e32 v4, 5, v0                                // 000000002B7C: 20080085
	v_lshlrev_b32_e32 v4, 2, v4                                // 000000002B80: 24080882
	v_mul_lo_u32 v26, v4, s29                                  // 000000002B84: D285001A 00003B04
	v_and_b32_e32 v4, 31, v0                                   // 000000002B8C: 2608009F
	v_lshlrev_b32_e32 v4, 2, v4                                // 000000002B90: 24080882
	v_add_u32_e32 v26, v26, v4                                 // 000000002B94: 6834091A
	s_mul_i32 s31, 8, s29                                      // 000000002B98: 921F1D88
	v_add_u32_e64 v27, v26, s31                                // 000000002B9C: D134001B 00003F1A
	v_add_u32_e64 v28, v27, s31                                // 000000002BA4: D134001C 00003F1B
	v_add_u32_e64 v29, v28, s31                                // 000000002BAC: D134001D 00003F1C
	v_add_u32_e64 v30, v29, s31                                // 000000002BB4: D134001E 00003F1D
	v_add_u32_e64 v31, v30, s31                                // 000000002BBC: D134001F 00003F1E
	v_add_u32_e64 v32, v31, s31                                // 000000002BC4: D1340020 00003F1F
	v_add_u32_e64 v33, v32, s31                                // 000000002BCC: D1340021 00003F20
	s_mul_i32 s31, s22, 64                                     // 000000002BD4: 921FC016
	s_add_u32 s31, s31, s24                                    // 000000002BD8: 801F181F
	s_mul_i32 s32, s31, s29                                    // 000000002BDC: 92201D1F
	v_add_u32_e64 v26, v26, s32                                // 000000002BE0: D134001A 0000411A
	v_add_u32_e64 v27, v27, s32                                // 000000002BE8: D134001B 0000411B
	v_add_u32_e64 v28, v28, s32                                // 000000002BF0: D134001C 0000411C
	v_add_u32_e64 v29, v29, s32                                // 000000002BF8: D134001D 0000411D
	v_add_u32_e64 v30, v30, s32                                // 000000002C00: D134001E 0000411E
	v_add_u32_e64 v31, v31, s32                                // 000000002C08: D134001F 0000411F
	v_add_u32_e64 v32, v32, s32                                // 000000002C10: D1340020 00004120
	v_add_u32_e64 v33, v33, s32                                // 000000002C18: D1340021 00004121
	s_cmp_le_u32 s48, 1                                        // 000000002C20: BF0B8130
	s_cbranch_scc1 label_0113                                  // 000000002C24: BF850049
	s_lshr_b32 s32, s27, 6                                     // 000000002C28: 8F20861B
	v_cvt_f32_u32_e32 v4, s48                                  // 000000002C2C: 7E080C30
	s_sub_i32 s31, 0, s48                                      // 000000002C30: 819F3080
	v_rcp_iflag_f32_e32 v4, v4                                 // 000000002C34: 7E084704
	s_nop 0                                                    // 000000002C38: BF800000
	v_mul_f32_e32 v4, 0x4f7ffffe, v4                           // 000000002C3C: 0A0808FF 4F7FFFFE
	v_cvt_u32_f32_e32 v4, v4                                   // 000000002C44: 7E080F04
	v_mul_lo_u32 v5, s31, v4                                   // 000000002C48: D2850005 0002081F
	v_mul_hi_u32 v5, v4, v5                                    // 000000002C50: D2860005 00020B04
	v_add_u32_e32 v4, v4, v5                                   // 000000002C58: 68080B04
	v_mul_hi_u32 v4, s32, v4                                   // 000000002C5C: D2860004 00020820
	v_mul_lo_u32 v5, v4, s48                                   // 000000002C64: D2850005 00006104
	v_sub_u32_e32 v7, s32, v5                                  // 000000002C6C: 6A0E0A20
	v_add_u32_e32 v6, 1, v4                                    // 000000002C70: 680C0881
	v_cmp_le_u32_e32 vcc, s48, v7                              // 000000002C74: 7D960E30
	v_subrev_u32_e32 v5, s48, v7                               // 000000002C78: 6C0A0E30
	s_nop 0                                                    // 000000002C7C: BF800000
	v_cndmask_b32_e32 v4, v4, v6, vcc                          // 000000002C80: 00080D04
	v_cndmask_b32_e32 v7, v7, v5, vcc                          // 000000002C84: 000E0B07
	v_add_u32_e32 v5, 1, v4                                    // 000000002C88: 680A0881
	v_cmp_le_u32_e32 vcc, s48, v7                              // 000000002C8C: 7D960E30
	s_nop 1                                                    // 000000002C90: BF800001
	v_cndmask_b32_e32 v7, v4, v5, vcc                          // 000000002C94: 000E0B04
	s_nop 3                                                    // 000000002C98: BF800003
	v_readfirstlane_b32 s32, v7                                // 000000002C9C: 7E400507
	s_nop 3                                                    // 000000002CA0: BF800003
	s_mul_i32 s32, s32, 64                                     // 000000002CA4: 9220C020
	s_mul_i32 s31, s49, s32                                    // 000000002CA8: 921F2031
	s_sub_i32 s52, s27, s31                                    // 000000002CAC: 81B41F1B
	s_sub_i32 s31, s48, 1                                      // 000000002CB0: 819F8130
	s_cmp_eq_i32 s49, s31                                      // 000000002CB4: BF001F31
	s_cselect_b32 s27, s52, s32                                // 000000002CB8: 851B2034
	s_mul_i32 s31, s32, 2                                      // 000000002CBC: 921F8220
	s_mul_i32 s31, s31, s49                                    // 000000002CC0: 921F311F
	v_add_u32_e64 v17, v17, s31                                // 000000002CC4: D1340011 00003F11
	v_add_u32_e64 v18, v18, s31                                // 000000002CCC: D1340012 00003F12
	v_add_u32_e64 v19, v19, s31                                // 000000002CD4: D1340013 00003F13
	v_add_u32_e64 v20, v20, s31                                // 000000002CDC: D1340014 00003F14
	v_add_u32_e64 v21, v21, s31                                // 000000002CE4: D1340015 00003F15
	v_add_u32_e64 v22, v22, s31                                // 000000002CEC: D1340016 00003F16
	v_add_u32_e64 v23, v23, s31                                // 000000002CF4: D1340017 00003F17
	v_add_u32_e64 v24, v24, s31                                // 000000002CFC: D1340018 00003F18
	s_mul_i32 s31, s32, 2                                      // 000000002D04: 921F8220
	s_mul_i32 s31, s31, s49                                    // 000000002D08: 921F311F
	v_add_u32_e64 v26, v26, s31                                // 000000002D0C: D134001A 00003F1A
	v_add_u32_e64 v27, v27, s31                                // 000000002D14: D134001B 00003F1B
	v_add_u32_e64 v28, v28, s31                                // 000000002D1C: D134001C 00003F1C
	v_add_u32_e64 v29, v29, s31                                // 000000002D24: D134001D 00003F1D
	v_add_u32_e64 v30, v30, s31                                // 000000002D2C: D134001E 00003F1E
	v_add_u32_e64 v31, v31, s31                                // 000000002D34: D134001F 00003F1F
	v_add_u32_e64 v32, v32, s31                                // 000000002D3C: D1340020 00003F20
	v_add_u32_e64 v33, v33, s31                                // 000000002D44: D1340021 00003F21

0000000000002d4c <label_0113>:
	v_lshrrev_b32_e32 v4, 4, v0                                // 000000002D4C: 20080084
	v_lshlrev_b32_e32 v5, 2, v4                                // 000000002D50: 240A0882
	v_and_b32_e32 v4, 15, v0                                   // 000000002D54: 2608008F
	v_lshrrev_b32_e32 v6, 2, v4                                // 000000002D58: 200C0882
	v_lshlrev_b32_e32 v6, 5, v6                                // 000000002D5C: 240C0C85
	v_add_u32_e32 v5, v6, v5                                   // 000000002D60: 680A0B06
	v_and_b32_e32 v4, 3, v0                                    // 000000002D64: 26080083
	v_mul_u32_u24_e32 v6, 0x208, v4                            // 000000002D68: 100C08FF 00000208
	v_add_u32_e32 v5, v6, v5                                   // 000000002D70: 680A0B06
	v_lshlrev_b32_e32 v34, 2, v5                               // 000000002D74: 24440A82
	s_mul_i32 s31, s24, 0x200                                  // 000000002D78: 921FFF18 00000200
	v_add_u32_e32 v34, s31, v34                                // 000000002D80: 6844441F
	s_mul_i32 s31, s24, 0x820                                  // 000000002D84: 921FFF18 00000820
	s_add_u32 s45, 0x6180, s31                                 // 000000002D8C: 802D1FFF 00006180
	s_add_u32 s46, 0x2080, s45                                 // 000000002D94: 802E2DFF 00002080
	s_add_u32 s47, 0x2080, s46                                 // 000000002D9C: 802F2EFF 00002080
	s_mul_i32 s31, s30, s25                                    // 000000002DA4: 921F191E
	s_mov_b32 s18, s31                                         // 000000002DA8: BE92001F
	s_cmp_lt_u32 s50, 1                                        // 000000002DAC: BF0A8132
	s_cbranch_scc0 label_0149                                  // 000000002DB0: BF84001C
	v_and_b32_e64 v12, v0, 15                                  // 000000002DB4: D113000C 00011F00
	v_mul_lo_u32 v12, v12, s30                                 // 000000002DBC: D285000C 00003D0C
	v_lshrrev_b32_e32 v4, 4, v0                                // 000000002DC4: 20080084
	v_mul_i32_i24_e32 v4, 16, v4                               // 000000002DC8: 0C080890
	v_add_u32_e32 v12, v4, v12                                 // 000000002DCC: 68181904
	s_mul_i32 s31, s23, 64                                     // 000000002DD0: 921FC017
	s_mul_i32 s31, s31, s30                                    // 000000002DD4: 921F1E1F
	v_add_u32_e32 v12, s31, v12                                // 000000002DD8: 6818181F
	s_mul_i32 s31, s22, 64                                     // 000000002DDC: 921FC016
	s_mul_i32 s31, s31, 4                                      // 000000002DE0: 921F841F
	v_add_u32_e32 v12, s31, v12                                // 000000002DE4: 6818181F
	s_mul_i32 s31, 64, s24                                     // 000000002DE8: 921F18C0
	v_add_u32_e32 v12, s31, v12                                // 000000002DEC: 6818181F
	s_mul_i32 s31, 16, s30                                     // 000000002DF0: 921F1E90
	v_add_u32_e32 v13, s31, v12                                // 000000002DF4: 681A181F
	v_add_u32_e32 v14, s31, v13                                // 000000002DF8: 681C1A1F
	v_add_u32_e32 v15, s31, v14                                // 000000002DFC: 681E1C1F
	s_mul_i32 s31, s23, 64                                     // 000000002E00: 921FC017
	s_add_i32 s31, s31, s24                                    // 000000002E04: 811F181F
	s_mul_i32 s31, s31, s30                                    // 000000002E08: 921F1E1F
	s_mul_i32 s32, s22, 64                                     // 000000002E0C: 9220C016
	s_mul_i32 s32, s32, 4                                      // 000000002E10: 92208420
	s_add_i32 s31, s31, s32                                    // 000000002E14: 811F201F
	v_lshlrev_b32_e32 v16, 2, v0                               // 000000002E18: 24200082
	v_add_u32_e32 v16, s31, v16                                // 000000002E1C: 6820201F
	s_branch label_016A                                        // 000000002E20: BF820021

0000000000002e24 <label_0149>:
	v_and_b32_e64 v12, v0, 15                                  // 000000002E24: D113000C 00011F00
	v_mul_lo_u32 v12, v12, s30                                 // 000000002E2C: D285000C 00003D0C
	v_lshrrev_b32_e32 v4, 4, v0                                // 000000002E34: 20080084
	v_mul_i32_i24_e32 v4, 8, v4                                // 000000002E38: 0C080888
	v_add_u32_e32 v12, v4, v12                                 // 000000002E3C: 68181904
	s_mul_i32 s31, s23, 64                                     // 000000002E40: 921FC017
	s_mul_i32 s31, s31, s30                                    // 000000002E44: 921F1E1F
	v_add_u32_e32 v12, s31, v12                                // 000000002E48: 6818181F
	s_mul_i32 s31, s22, 64                                     // 000000002E4C: 921FC016
	s_mul_i32 s31, s31, 2                                      // 000000002E50: 921F821F
	v_add_u32_e32 v12, s31, v12                                // 000000002E54: 6818181F
	s_mul_i32 s31, 32, s24                                     // 000000002E58: 921F18A0
	v_add_u32_e32 v12, s31, v12                                // 000000002E5C: 6818181F
	s_mul_i32 s31, 16, s30                                     // 000000002E60: 921F1E90
	v_add_u32_e32 v13, s31, v12                                // 000000002E64: 681A181F
	v_add_u32_e32 v14, s31, v13                                // 000000002E68: 681C1A1F
	v_add_u32_e32 v15, s31, v14                                // 000000002E6C: 681E1C1F
	s_mul_i32 s31, s23, 64                                     // 000000002E70: 921FC017
	s_add_i32 s31, s31, s24                                    // 000000002E74: 811F181F
	s_mul_i32 s31, s31, s30                                    // 000000002E78: 921F1E1F
	s_mul_i32 s32, s22, 64                                     // 000000002E7C: 9220C016
	s_mul_i32 s32, s32, 2                                      // 000000002E80: 92208220
	s_add_i32 s31, s31, s32                                    // 000000002E84: 811F201F
	v_lshrrev_b32_e32 v4, 5, v0                                // 000000002E88: 20080085
	s_mul_i32 s32, s30, 4                                      // 000000002E8C: 9220841E
	v_mul_lo_u32 v4, v4, s32                                   // 000000002E90: D2850004 00004104
	v_and_b32_e32 v5, 31, v0                                   // 000000002E98: 260A009F
	v_lshlrev_b32_e32 v5, 2, v5                                // 000000002E9C: 240A0A82
	v_add_u32_e32 v16, v4, v5                                  // 000000002EA0: 68200B04
	v_add_u32_e32 v16, s31, v16                                // 000000002EA4: 6820201F

0000000000002ea8 <label_016A>:
	s_cmp_eq_u32 s57, 1                                        // 000000002EA8: BF068139
	s_cbranch_scc0 label_019D                                  // 000000002EAC: BF840031
	s_cmp_eq_i32 s49, 0                                        // 000000002EB0: BF008031
	s_cbranch_scc0 label_019D                                  // 000000002EB4: BF84002F
	s_mul_i32 s31, 2, s26                                      // 000000002EB8: 921F1A82
	s_mov_b32 s38, s31                                         // 000000002EBC: BEA6001F
	v_lshrrev_b32_e32 v4, 4, v0                                // 000000002EC0: 20080084
	v_mul_i32_i24_e32 v60, 8, v4                               // 000000002EC4: 0C780888
	s_mul_i32 s31, 32, s24                                     // 000000002EC8: 921F18A0
	v_add_u32_e32 v60, s31, v60                                // 000000002ECC: 6878781F
	s_mul_i32 s32, s22, 64                                     // 000000002ED0: 9220C016
	s_mul_i32 s32, s32, 2                                      // 000000002ED4: 92208220
	v_add_u32_e32 v60, s32, v60                                // 000000002ED8: 68787820
	v_mov_b32_e32 v62, 0                                       // 000000002EDC: 7E7C0280
	v_mov_b32_e32 v63, 0                                       // 000000002EE0: 7E7E0280
	buffer_load_dwordx2 v[62:63], v60, s[36:39], 0 offen       // 000000002EE4: E0541000 80093E3C
	s_waitcnt vmcnt(0)                                         // 000000002EEC: BF8C0F70
	v_mov_b32_e32 v4, 0xffff0000                               // 000000002EF0: 7E0802FF FFFF0000
	v_and_b32_e32 v4, v62, v4                                  // 000000002EF8: 2608093E
	v_mov_b32_e32 v5, 0xffff                                   // 000000002EFC: 7E0A02FF 0000FFFF
	v_and_b32_e32 v5, v62, v5                                  // 000000002F04: 260A0B3E
	v_mov_b32_e32 v65, v4                                      // 000000002F08: 7E820304
	v_lshlrev_b32_e32 v64, 16, v5                              // 000000002F0C: 24800A90
	v_mov_b32_e32 v4, 0xffff0000                               // 000000002F10: 7E0802FF FFFF0000
	v_and_b32_e32 v4, v63, v4                                  // 000000002F18: 2608093F
	v_mov_b32_e32 v5, 0xffff                                   // 000000002F1C: 7E0A02FF 0000FFFF
	v_and_b32_e32 v5, v63, v5                                  // 000000002F24: 260A0B3F
	v_mov_b32_e32 v67, v4                                      // 000000002F28: 7E860304
	v_lshlrev_b32_e32 v66, 16, v5                              // 000000002F2C: 24840A90
	v_mov_b32_e32 v36, v64                                     // 000000002F30: 7E480340
	v_mov_b32_e32 v37, v65                                     // 000000002F34: 7E4A0341
	v_mov_b32_e32 v38, v66                                     // 000000002F38: 7E4C0342
	v_mov_b32_e32 v39, v67                                     // 000000002F3C: 7E4E0343
	v_mov_b32_e32 v40, v64                                     // 000000002F40: 7E500340
	v_mov_b32_e32 v41, v65                                     // 000000002F44: 7E520341
	v_mov_b32_e32 v42, v66                                     // 000000002F48: 7E540342
	v_mov_b32_e32 v43, v67                                     // 000000002F4C: 7E560343
	v_mov_b32_e32 v44, v64                                     // 000000002F50: 7E580340
	v_mov_b32_e32 v45, v65                                     // 000000002F54: 7E5A0341
	v_mov_b32_e32 v46, v66                                     // 000000002F58: 7E5C0342
	v_mov_b32_e32 v47, v67                                     // 000000002F5C: 7E5E0343
	v_mov_b32_e32 v48, v64                                     // 000000002F60: 7E600340
	v_mov_b32_e32 v49, v65                                     // 000000002F64: 7E620341
	v_mov_b32_e32 v50, v66                                     // 000000002F68: 7E640342
	v_mov_b32_e32 v51, v67                                     // 000000002F6C: 7E660343
	s_branch label_01AD                                        // 000000002F70: BF820010

0000000000002f74 <label_019D>:
	v_mov_b32_e32 v36, 0                                       // 000000002F74: 7E480280
	v_mov_b32_e32 v37, 0                                       // 000000002F78: 7E4A0280
	v_mov_b32_e32 v38, 0                                       // 000000002F7C: 7E4C0280
	v_mov_b32_e32 v39, 0                                       // 000000002F80: 7E4E0280
	v_mov_b32_e32 v40, 0                                       // 000000002F84: 7E500280
	v_mov_b32_e32 v41, 0                                       // 000000002F88: 7E520280
	v_mov_b32_e32 v42, 0                                       // 000000002F8C: 7E540280
	v_mov_b32_e32 v43, 0                                       // 000000002F90: 7E560280
	v_mov_b32_e32 v44, 0                                       // 000000002F94: 7E580280
	v_mov_b32_e32 v45, 0                                       // 000000002F98: 7E5A0280
	v_mov_b32_e32 v46, 0                                       // 000000002F9C: 7E5C0280
	v_mov_b32_e32 v47, 0                                       // 000000002FA0: 7E5E0280
	v_mov_b32_e32 v48, 0                                       // 000000002FA4: 7E600280
	v_mov_b32_e32 v49, 0                                       // 000000002FA8: 7E620280
	v_mov_b32_e32 v50, 0                                       // 000000002FAC: 7E640280
	v_mov_b32_e32 v51, 0                                       // 000000002FB0: 7E660280

0000000000002fb4 <label_01AD>:
	s_add_u32 m0, 0, s42                                       // 000000002FB4: 807C2A80
	buffer_load_dword v17, s[4:7], 0 offen lds                 // 000000002FB8: E0511000 80010011
	s_add_u32 m0, 0x100, s42                                   // 000000002FC0: 807C2AFF 00000100
	buffer_load_dword v18, s[4:7], 0 offen lds                 // 000000002FC8: E0511000 80010012
	s_add_u32 m0, 0x200, s42                                   // 000000002FD0: 807C2AFF 00000200
	buffer_load_dword v19, s[4:7], 0 offen lds                 // 000000002FD8: E0511000 80010013
	s_add_u32 m0, 0x300, s42                                   // 000000002FE0: 807C2AFF 00000300
	buffer_load_dword v20, s[4:7], 0 offen lds                 // 000000002FE8: E0511000 80010014
	s_add_u32 m0, 0x400, s42                                   // 000000002FF0: 807C2AFF 00000400
	buffer_load_dword v21, s[4:7], 0 offen lds                 // 000000002FF8: E0511000 80010015
	s_add_u32 m0, 0x500, s42                                   // 000000003000: 807C2AFF 00000500
	buffer_load_dword v22, s[4:7], 0 offen lds                 // 000000003008: E0511000 80010016
	s_add_u32 m0, 0x600, s42                                   // 000000003010: 807C2AFF 00000600
	buffer_load_dword v23, s[4:7], 0 offen lds                 // 000000003018: E0511000 80010017
	;; [unrolled: 2-line block ×3, first 2 shown]
	s_add_u32 s4, s40, s4                                      // 000000003030: 80040428
	s_addc_u32 s5, 0, s5                                       // 000000003034: 82050580
	s_sub_u32 s6, s6, s40                                      // 000000003038: 80862806
	s_add_u32 m0, 0, s45                                       // 00000000303C: 807C2D80
	buffer_load_dword v26, s[8:11], 0 offen lds                // 000000003040: E0511000 8002001A
	s_add_u32 m0, 0x100, s45                                   // 000000003048: 807C2DFF 00000100
	buffer_load_dword v27, s[8:11], 0 offen lds                // 000000003050: E0511000 8002001B
	s_add_u32 m0, 0x200, s45                                   // 000000003058: 807C2DFF 00000200
	buffer_load_dword v28, s[8:11], 0 offen lds                // 000000003060: E0511000 8002001C
	s_add_u32 m0, 0x300, s45                                   // 000000003068: 807C2DFF 00000300
	buffer_load_dword v29, s[8:11], 0 offen lds                // 000000003070: E0511000 8002001D
	s_add_u32 m0, 0x400, s45                                   // 000000003078: 807C2DFF 00000400
	buffer_load_dword v30, s[8:11], 0 offen lds                // 000000003080: E0511000 8002001E
	s_add_u32 m0, 0x500, s45                                   // 000000003088: 807C2DFF 00000500
	buffer_load_dword v31, s[8:11], 0 offen lds                // 000000003090: E0511000 8002001F
	s_add_u32 m0, 0x600, s45                                   // 000000003098: 807C2DFF 00000600
	buffer_load_dword v32, s[8:11], 0 offen lds                // 0000000030A0: E0511000 80020020
	s_add_u32 m0, 0x700, s45                                   // 0000000030A8: 807C2DFF 00000700
	buffer_load_dword v33, s[8:11], 0 offen lds                // 0000000030B0: E0511000 80020021
	s_add_u32 s8, s41, s8                                      // 0000000030B8: 80080829
	s_addc_u32 s9, 0, s9                                       // 0000000030BC: 82090980
	s_sub_u32 s10, s10, s41                                    // 0000000030C0: 808A290A
	s_add_u32 m0, 0, s43                                       // 0000000030C4: 807C2B80
	buffer_load_dword v17, s[4:7], 0 offen lds                 // 0000000030C8: E0511000 80010011
	s_add_u32 m0, 0x100, s43                                   // 0000000030D0: 807C2BFF 00000100
	buffer_load_dword v18, s[4:7], 0 offen lds                 // 0000000030D8: E0511000 80010012
	s_add_u32 m0, 0x200, s43                                   // 0000000030E0: 807C2BFF 00000200
	buffer_load_dword v19, s[4:7], 0 offen lds                 // 0000000030E8: E0511000 80010013
	s_add_u32 m0, 0x300, s43                                   // 0000000030F0: 807C2BFF 00000300
	buffer_load_dword v20, s[4:7], 0 offen lds                 // 0000000030F8: E0511000 80010014
	s_add_u32 m0, 0x400, s43                                   // 000000003100: 807C2BFF 00000400
	buffer_load_dword v21, s[4:7], 0 offen lds                 // 000000003108: E0511000 80010015
	s_add_u32 m0, 0x500, s43                                   // 000000003110: 807C2BFF 00000500
	buffer_load_dword v22, s[4:7], 0 offen lds                 // 000000003118: E0511000 80010016
	;; [unrolled: 2-line block ×4, first 2 shown]
	s_add_u32 s4, s40, s4                                      // 000000003140: 80040428
	s_addc_u32 s5, 0, s5                                       // 000000003144: 82050580
	s_sub_u32 s6, s6, s40                                      // 000000003148: 80862806
	s_add_u32 m0, 0, s46                                       // 00000000314C: 807C2E80
	buffer_load_dword v26, s[8:11], 0 offen lds                // 000000003150: E0511000 8002001A
	s_add_u32 m0, 0x100, s46                                   // 000000003158: 807C2EFF 00000100
	buffer_load_dword v27, s[8:11], 0 offen lds                // 000000003160: E0511000 8002001B
	s_add_u32 m0, 0x200, s46                                   // 000000003168: 807C2EFF 00000200
	buffer_load_dword v28, s[8:11], 0 offen lds                // 000000003170: E0511000 8002001C
	s_add_u32 m0, 0x300, s46                                   // 000000003178: 807C2EFF 00000300
	buffer_load_dword v29, s[8:11], 0 offen lds                // 000000003180: E0511000 8002001D
	s_add_u32 m0, 0x400, s46                                   // 000000003188: 807C2EFF 00000400
	buffer_load_dword v30, s[8:11], 0 offen lds                // 000000003190: E0511000 8002001E
	s_add_u32 m0, 0x500, s46                                   // 000000003198: 807C2EFF 00000500
	buffer_load_dword v31, s[8:11], 0 offen lds                // 0000000031A0: E0511000 8002001F
	s_add_u32 m0, 0x600, s46                                   // 0000000031A8: 807C2EFF 00000600
	buffer_load_dword v32, s[8:11], 0 offen lds                // 0000000031B0: E0511000 80020020
	s_add_u32 m0, 0x700, s46                                   // 0000000031B8: 807C2EFF 00000700
	buffer_load_dword v33, s[8:11], 0 offen lds                // 0000000031C0: E0511000 80020021
	s_add_u32 s8, s41, s8                                      // 0000000031C8: 80080829
	s_addc_u32 s9, 0, s9                                       // 0000000031CC: 82090980
	s_sub_u32 s10, s10, s41                                    // 0000000031D0: 808A290A
	s_add_u32 m0, 0, s44                                       // 0000000031D4: 807C2C80
	buffer_load_dword v17, s[4:7], 0 offen lds                 // 0000000031D8: E0511000 80010011
	s_add_u32 m0, 0x100, s44                                   // 0000000031E0: 807C2CFF 00000100
	buffer_load_dword v18, s[4:7], 0 offen lds                 // 0000000031E8: E0511000 80010012
	s_add_u32 m0, 0x200, s44                                   // 0000000031F0: 807C2CFF 00000200
	buffer_load_dword v19, s[4:7], 0 offen lds                 // 0000000031F8: E0511000 80010013
	s_add_u32 m0, 0x300, s44                                   // 000000003200: 807C2CFF 00000300
	buffer_load_dword v20, s[4:7], 0 offen lds                 // 000000003208: E0511000 80010014
	s_add_u32 m0, 0x400, s44                                   // 000000003210: 807C2CFF 00000400
	buffer_load_dword v21, s[4:7], 0 offen lds                 // 000000003218: E0511000 80010015
	;; [unrolled: 2-line block ×5, first 2 shown]
	s_add_u32 s4, s40, s4                                      // 000000003250: 80040428
	s_addc_u32 s5, 0, s5                                       // 000000003254: 82050580
	s_sub_u32 s6, s6, s40                                      // 000000003258: 80862806
	s_add_u32 m0, 0, s47                                       // 00000000325C: 807C2F80
	buffer_load_dword v26, s[8:11], 0 offen lds                // 000000003260: E0511000 8002001A
	s_add_u32 m0, 0x100, s47                                   // 000000003268: 807C2FFF 00000100
	buffer_load_dword v27, s[8:11], 0 offen lds                // 000000003270: E0511000 8002001B
	s_add_u32 m0, 0x200, s47                                   // 000000003278: 807C2FFF 00000200
	buffer_load_dword v28, s[8:11], 0 offen lds                // 000000003280: E0511000 8002001C
	s_add_u32 m0, 0x300, s47                                   // 000000003288: 807C2FFF 00000300
	buffer_load_dword v29, s[8:11], 0 offen lds                // 000000003290: E0511000 8002001D
	s_add_u32 m0, 0x400, s47                                   // 000000003298: 807C2FFF 00000400
	buffer_load_dword v30, s[8:11], 0 offen lds                // 0000000032A0: E0511000 8002001E
	s_add_u32 m0, 0x500, s47                                   // 0000000032A8: 807C2FFF 00000500
	buffer_load_dword v31, s[8:11], 0 offen lds                // 0000000032B0: E0511000 8002001F
	s_add_u32 m0, 0x600, s47                                   // 0000000032B8: 807C2FFF 00000600
	buffer_load_dword v32, s[8:11], 0 offen lds                // 0000000032C0: E0511000 80020020
	s_add_u32 m0, 0x700, s47                                   // 0000000032C8: 807C2FFF 00000700
	buffer_load_dword v33, s[8:11], 0 offen lds                // 0000000032D0: E0511000 80020021
	s_add_u32 s8, s41, s8                                      // 0000000032D8: 80080829
	s_addc_u32 s9, 0, s9                                       // 0000000032DC: 82090980
	s_sub_u32 s10, s10, s41                                    // 0000000032E0: 808A290A
	s_mov_b32 s34, s27                                         // 0000000032E4: BEA2001B
	s_mov_b32 s33, 0                                           // 0000000032E8: BEA10080
	s_mul_i32 s31, s23, 64                                     // 0000000032EC: 921FC017
	s_sub_i32 s51, s25, s31                                    // 0000000032F0: 81B31F19
	s_waitcnt vmcnt(32)                                        // 0000000032F4: BF8C8F70
	s_barrier                                                  // 0000000032F8: BF8A0000
	ds_read_b128 a[0:3], v25                                   // 0000000032FC: DBFE0000 00000019
	ds_read_b128 a[4:7], v25 offset:64                         // 000000003304: DBFE0040 04000019
	ds_read_b128 a[8:11], v25 offset:512                       // 00000000330C: DBFE0200 08000019
	ds_read_b128 a[12:15], v25 offset:576                      // 000000003314: DBFE0240 0C000019
	ds_read_b128 a[16:19], v25 offset:1024                     // 00000000331C: DBFE0400 10000019
	ds_read_b128 a[20:23], v25 offset:1088                     // 000000003324: DBFE0440 14000019
	ds_read_b128 a[24:27], v25 offset:1536                     // 00000000332C: DBFE0600 18000019
	ds_read_b128 a[28:31], v25 offset:1600                     // 000000003334: DBFE0640 1C000019
	ds_read_b128 a[64:67], v34 offset:24960                    // 00000000333C: DBFE6180 40000022
	ds_read_b128 a[68:71], v34 offset:25024                    // 000000003344: DBFE61C0 44000022
	s_cmp_lt_i32 s24, 2                                        // 00000000334C: BF048218
	s_cbranch_scc0 label_05A8                                  // 000000003350: BF840313

0000000000003354 <label_0295>:
	s_waitcnt vmcnt(16) lgkmcnt(0)                             // 000000003354: BF8C4070
	s_barrier                                                  // 000000003358: BF8A0000
	v_mfma_f32_16x16x16_bf16 v[36:39], a[64:65], a[0:1], v[36:39]// 00000000335C: D3E10024 1C920140
	s_add_u32 m0, 0, s42                                       // 000000003364: 807C2A80
	buffer_load_dword v17, s[4:7], 0 offen lds                 // 000000003368: E0511000 80010011
	v_mfma_f32_16x16x16_bf16 v[36:39], a[66:67], a[2:3], v[36:39]// 000000003370: D3E10024 1C920542
	s_add_u32 m0, 0x100, s42                                   // 000000003378: 807C2AFF 00000100
	buffer_load_dword v18, s[4:7], 0 offen lds                 // 000000003380: E0511000 80010012
	ds_read_b128 a[32:35], v25 offset:8320                     // 000000003388: DBFE2080 20000019
	ds_read_b128 a[36:39], v25 offset:8384                     // 000000003390: DBFE20C0 24000019
	v_mfma_f32_16x16x16_bf16 v[36:39], a[68:69], a[4:5], v[36:39]// 000000003398: D3E10024 1C920944
	s_add_u32 m0, 0x200, s42                                   // 0000000033A0: 807C2AFF 00000200
	buffer_load_dword v19, s[4:7], 0 offen lds                 // 0000000033A8: E0511000 80010013
	v_mfma_f32_16x16x16_bf16 v[36:39], a[70:71], a[6:7], v[36:39]// 0000000033B0: D3E10024 1C920D46
	s_add_u32 m0, 0x300, s42                                   // 0000000033B8: 807C2AFF 00000300
	buffer_load_dword v20, s[4:7], 0 offen lds                 // 0000000033C0: E0511000 80010014
	ds_read_b128 a[40:43], v25 offset:8832                     // 0000000033C8: DBFE2280 28000019
	ds_read_b128 a[44:47], v25 offset:8896                     // 0000000033D0: DBFE22C0 2C000019
	v_mfma_f32_16x16x16_bf16 v[40:43], a[64:65], a[8:9], v[40:43]// 0000000033D8: D3E10028 1CA21140
	s_add_u32 m0, 0x400, s42                                   // 0000000033E0: 807C2AFF 00000400
	buffer_load_dword v21, s[4:7], 0 offen lds                 // 0000000033E8: E0511000 80010015
	v_mfma_f32_16x16x16_bf16 v[40:43], a[66:67], a[10:11], v[40:43]// 0000000033F0: D3E10028 1CA21542
	s_add_u32 m0, 0x500, s42                                   // 0000000033F8: 807C2AFF 00000500
	buffer_load_dword v22, s[4:7], 0 offen lds                 // 000000003400: E0511000 80010016
	ds_read_b128 a[48:51], v25 offset:9344                     // 000000003408: DBFE2480 30000019
	ds_read_b128 a[52:55], v25 offset:9408                     // 000000003410: DBFE24C0 34000019
	v_mfma_f32_16x16x16_bf16 v[40:43], a[68:69], a[12:13], v[40:43]// 000000003418: D3E10028 1CA21944
	s_add_u32 m0, 0x600, s42                                   // 000000003420: 807C2AFF 00000600
	buffer_load_dword v23, s[4:7], 0 offen lds                 // 000000003428: E0511000 80010017
	v_mfma_f32_16x16x16_bf16 v[40:43], a[70:71], a[14:15], v[40:43]// 000000003430: D3E10028 1CA21D46
	s_add_u32 m0, 0x700, s42                                   // 000000003438: 807C2AFF 00000700
	buffer_load_dword v24, s[4:7], 0 offen lds                 // 000000003440: E0511000 80010018
	ds_read_b128 a[56:59], v25 offset:9856                     // 000000003448: DBFE2680 38000019
	ds_read_b128 a[60:63], v25 offset:9920                     // 000000003450: DBFE26C0 3C000019
	v_mfma_f32_16x16x16_bf16 v[44:47], a[64:65], a[16:17], v[44:47]// 000000003458: D3E1002C 1CB22140
	s_add_u32 s31, 0x100, s33                                  // 000000003460: 801F21FF 00000100
	s_cmp_lt_u32 s31, s34                                      // 000000003468: BF0A221F
	s_cselect_b32 s40, s40, 0                                  // 00000000346C: 85288028
	s_add_u32 m0, 0, s45                                       // 000000003470: 807C2D80
	buffer_load_dword v26, s[8:11], 0 offen lds                // 000000003474: E0511000 8002001A
	v_mfma_f32_16x16x16_bf16 v[44:47], a[66:67], a[18:19], v[44:47]// 00000000347C: D3E1002C 1CB22542
	s_add_u32 m0, 0x100, s45                                   // 000000003484: 807C2DFF 00000100
	buffer_load_dword v27, s[8:11], 0 offen lds                // 00000000348C: E0511000 8002001B
	s_add_u32 s4, s40, s4                                      // 000000003494: 80040428
	s_addc_u32 s5, 0, s5                                       // 000000003498: 82050580
	ds_read_b128 a[72:75], v34 offset:33280                    // 00000000349C: DBFE8200 48000022
	ds_read_b128 a[76:79], v34 offset:33344                    // 0000000034A4: DBFE8240 4C000022
	v_mfma_f32_16x16x16_bf16 v[44:47], a[68:69], a[20:21], v[44:47]// 0000000034AC: D3E1002C 1CB22944
	s_add_u32 m0, 0x200, s45                                   // 0000000034B4: 807C2DFF 00000200
	buffer_load_dword v28, s[8:11], 0 offen lds                // 0000000034BC: E0511000 8002001C
	v_mfma_f32_16x16x16_bf16 v[44:47], a[70:71], a[22:23], v[44:47]// 0000000034C4: D3E1002C 1CB22D46
	s_add_u32 m0, 0x300, s45                                   // 0000000034CC: 807C2DFF 00000300
	buffer_load_dword v29, s[8:11], 0 offen lds                // 0000000034D4: E0511000 8002001D
	v_mfma_f32_16x16x16_bf16 v[48:51], a[64:65], a[24:25], v[48:51]// 0000000034DC: D3E10030 1CC23140
	s_add_u32 m0, 0x400, s45                                   // 0000000034E4: 807C2DFF 00000400
	buffer_load_dword v30, s[8:11], 0 offen lds                // 0000000034EC: E0511000 8002001E
	v_mfma_f32_16x16x16_bf16 v[48:51], a[66:67], a[26:27], v[48:51]// 0000000034F4: D3E10030 1CC23542
	s_add_u32 m0, 0x500, s45                                   // 0000000034FC: 807C2DFF 00000500
	buffer_load_dword v31, s[8:11], 0 offen lds                // 000000003504: E0511000 8002001F
	v_mfma_f32_16x16x16_bf16 v[48:51], a[68:69], a[28:29], v[48:51]// 00000000350C: D3E10030 1CC23944
	s_add_u32 m0, 0x600, s45                                   // 000000003514: 807C2DFF 00000600
	buffer_load_dword v32, s[8:11], 0 offen lds                // 00000000351C: E0511000 80020020
	v_mfma_f32_16x16x16_bf16 v[48:51], a[70:71], a[30:31], v[48:51]// 000000003524: D3E10030 1CC23D46
	s_add_u32 m0, 0x700, s45                                   // 00000000352C: 807C2DFF 00000700
	buffer_load_dword v33, s[8:11], 0 offen lds                // 000000003534: E0511000 80020021
	s_add_u32 s31, 0x100, s33                                  // 00000000353C: 801F21FF 00000100
	s_cmp_lt_u32 s31, s34                                      // 000000003544: BF0A221F
	s_cselect_b32 s41, s41, 0                                  // 000000003548: 85298029
	s_add_u32 s8, s41, s8                                      // 00000000354C: 80080829
	s_addc_u32 s9, 0, s9                                       // 000000003550: 82090980
	s_addk_i32 s33, 0x40                                       // 000000003554: B7210040
	s_cmp_lt_i32 s33, s34                                      // 000000003558: BF042221
	s_cbranch_scc0 label_08BB                                  // 00000000355C: BF8405A3
	s_waitcnt vmcnt(16) lgkmcnt(0)                             // 000000003560: BF8C4070
	s_barrier                                                  // 000000003564: BF8A0000
	v_mfma_f32_16x16x16_bf16 v[36:39], a[72:73], a[32:33], v[36:39]// 000000003568: D3E10024 1C924148
	s_add_u32 m0, 0, s43                                       // 000000003570: 807C2B80
	buffer_load_dword v17, s[4:7], 0 offen lds                 // 000000003574: E0511000 80010011
	v_mfma_f32_16x16x16_bf16 v[36:39], a[74:75], a[34:35], v[36:39]// 00000000357C: D3E10024 1C92454A
	s_add_u32 m0, 0x100, s43                                   // 000000003584: 807C2BFF 00000100
	buffer_load_dword v18, s[4:7], 0 offen lds                 // 00000000358C: E0511000 80010012
	ds_read_b128 a[0:3], v25 offset:16640                      // 000000003594: DBFE4100 00000019
	ds_read_b128 a[4:7], v25 offset:16704                      // 00000000359C: DBFE4140 04000019
	v_mfma_f32_16x16x16_bf16 v[36:39], a[76:77], a[36:37], v[36:39]// 0000000035A4: D3E10024 1C92494C
	s_add_u32 m0, 0x200, s43                                   // 0000000035AC: 807C2BFF 00000200
	buffer_load_dword v19, s[4:7], 0 offen lds                 // 0000000035B4: E0511000 80010013
	v_mfma_f32_16x16x16_bf16 v[36:39], a[78:79], a[38:39], v[36:39]// 0000000035BC: D3E10024 1C924D4E
	s_add_u32 m0, 0x300, s43                                   // 0000000035C4: 807C2BFF 00000300
	buffer_load_dword v20, s[4:7], 0 offen lds                 // 0000000035CC: E0511000 80010014
	ds_read_b128 a[8:11], v25 offset:17152                     // 0000000035D4: DBFE4300 08000019
	ds_read_b128 a[12:15], v25 offset:17216                    // 0000000035DC: DBFE4340 0C000019
	v_mfma_f32_16x16x16_bf16 v[40:43], a[72:73], a[40:41], v[40:43]// 0000000035E4: D3E10028 1CA25148
	s_add_u32 m0, 0x400, s43                                   // 0000000035EC: 807C2BFF 00000400
	buffer_load_dword v21, s[4:7], 0 offen lds                 // 0000000035F4: E0511000 80010015
	v_mfma_f32_16x16x16_bf16 v[40:43], a[74:75], a[42:43], v[40:43]// 0000000035FC: D3E10028 1CA2554A
	s_add_u32 m0, 0x500, s43                                   // 000000003604: 807C2BFF 00000500
	buffer_load_dword v22, s[4:7], 0 offen lds                 // 00000000360C: E0511000 80010016
	ds_read_b128 a[16:19], v25 offset:17664                    // 000000003614: DBFE4500 10000019
	ds_read_b128 a[20:23], v25 offset:17728                    // 00000000361C: DBFE4540 14000019
	v_mfma_f32_16x16x16_bf16 v[40:43], a[76:77], a[44:45], v[40:43]// 000000003624: D3E10028 1CA2594C
	s_add_u32 m0, 0x600, s43                                   // 00000000362C: 807C2BFF 00000600
	buffer_load_dword v23, s[4:7], 0 offen lds                 // 000000003634: E0511000 80010017
	v_mfma_f32_16x16x16_bf16 v[40:43], a[78:79], a[46:47], v[40:43]// 00000000363C: D3E10028 1CA25D4E
	s_add_u32 m0, 0x700, s43                                   // 000000003644: 807C2BFF 00000700
	buffer_load_dword v24, s[4:7], 0 offen lds                 // 00000000364C: E0511000 80010018
	ds_read_b128 a[24:27], v25 offset:18176                    // 000000003654: DBFE4700 18000019
	ds_read_b128 a[28:31], v25 offset:18240                    // 00000000365C: DBFE4740 1C000019
	v_mfma_f32_16x16x16_bf16 v[44:47], a[72:73], a[48:49], v[44:47]// 000000003664: D3E1002C 1CB26148
	s_add_u32 s31, 0x100, s33                                  // 00000000366C: 801F21FF 00000100
	s_cmp_lt_u32 s31, s34                                      // 000000003674: BF0A221F
	s_cselect_b32 s40, s40, 0                                  // 000000003678: 85288028
	s_add_u32 m0, 0, s46                                       // 00000000367C: 807C2E80
	buffer_load_dword v26, s[8:11], 0 offen lds                // 000000003680: E0511000 8002001A
	v_mfma_f32_16x16x16_bf16 v[44:47], a[74:75], a[50:51], v[44:47]// 000000003688: D3E1002C 1CB2654A
	s_add_u32 m0, 0x100, s46                                   // 000000003690: 807C2EFF 00000100
	buffer_load_dword v27, s[8:11], 0 offen lds                // 000000003698: E0511000 8002001B
	s_add_u32 s4, s40, s4                                      // 0000000036A0: 80040428
	s_addc_u32 s5, 0, s5                                       // 0000000036A4: 82050580
	ds_read_b128 a[64:67], v34 offset:41600                    // 0000000036A8: DBFEA280 40000022
	ds_read_b128 a[68:71], v34 offset:41664                    // 0000000036B0: DBFEA2C0 44000022
	v_mfma_f32_16x16x16_bf16 v[44:47], a[76:77], a[52:53], v[44:47]// 0000000036B8: D3E1002C 1CB2694C
	s_add_u32 m0, 0x200, s46                                   // 0000000036C0: 807C2EFF 00000200
	buffer_load_dword v28, s[8:11], 0 offen lds                // 0000000036C8: E0511000 8002001C
	v_mfma_f32_16x16x16_bf16 v[44:47], a[78:79], a[54:55], v[44:47]// 0000000036D0: D3E1002C 1CB26D4E
	s_add_u32 m0, 0x300, s46                                   // 0000000036D8: 807C2EFF 00000300
	buffer_load_dword v29, s[8:11], 0 offen lds                // 0000000036E0: E0511000 8002001D
	v_mfma_f32_16x16x16_bf16 v[48:51], a[72:73], a[56:57], v[48:51]// 0000000036E8: D3E10030 1CC27148
	s_add_u32 m0, 0x400, s46                                   // 0000000036F0: 807C2EFF 00000400
	buffer_load_dword v30, s[8:11], 0 offen lds                // 0000000036F8: E0511000 8002001E
	v_mfma_f32_16x16x16_bf16 v[48:51], a[74:75], a[58:59], v[48:51]// 000000003700: D3E10030 1CC2754A
	s_add_u32 m0, 0x500, s46                                   // 000000003708: 807C2EFF 00000500
	buffer_load_dword v31, s[8:11], 0 offen lds                // 000000003710: E0511000 8002001F
	v_mfma_f32_16x16x16_bf16 v[48:51], a[76:77], a[60:61], v[48:51]// 000000003718: D3E10030 1CC2794C
	s_add_u32 m0, 0x600, s46                                   // 000000003720: 807C2EFF 00000600
	buffer_load_dword v32, s[8:11], 0 offen lds                // 000000003728: E0511000 80020020
	v_mfma_f32_16x16x16_bf16 v[48:51], a[78:79], a[62:63], v[48:51]// 000000003730: D3E10030 1CC27D4E
	s_add_u32 m0, 0x700, s46                                   // 000000003738: 807C2EFF 00000700
	buffer_load_dword v33, s[8:11], 0 offen lds                // 000000003740: E0511000 80020021
	s_add_u32 s31, 0x100, s33                                  // 000000003748: 801F21FF 00000100
	s_cmp_lt_u32 s31, s34                                      // 000000003750: BF0A221F
	s_cselect_b32 s41, s41, 0                                  // 000000003754: 85298029
	s_add_u32 s8, s41, s8                                      // 000000003758: 80080829
	s_addc_u32 s9, 0, s9                                       // 00000000375C: 82090980
	s_addk_i32 s33, 0x40                                       // 000000003760: B7210040
	s_cmp_lt_i32 s33, s34                                      // 000000003764: BF042221
	s_cbranch_scc0 label_08BB                                  // 000000003768: BF840520
	s_waitcnt vmcnt(16) lgkmcnt(0)                             // 00000000376C: BF8C4070
	s_barrier                                                  // 000000003770: BF8A0000
	v_mfma_f32_16x16x16_bf16 v[36:39], a[64:65], a[0:1], v[36:39]// 000000003774: D3E10024 1C920140
	s_add_u32 m0, 0, s44                                       // 00000000377C: 807C2C80
	buffer_load_dword v17, s[4:7], 0 offen lds                 // 000000003780: E0511000 80010011
	v_mfma_f32_16x16x16_bf16 v[36:39], a[66:67], a[2:3], v[36:39]// 000000003788: D3E10024 1C920542
	s_add_u32 m0, 0x100, s44                                   // 000000003790: 807C2CFF 00000100
	buffer_load_dword v18, s[4:7], 0 offen lds                 // 000000003798: E0511000 80010012
	ds_read_b128 a[32:35], v25                                 // 0000000037A0: DBFE0000 20000019
	ds_read_b128 a[36:39], v25 offset:64                       // 0000000037A8: DBFE0040 24000019
	v_mfma_f32_16x16x16_bf16 v[36:39], a[68:69], a[4:5], v[36:39]// 0000000037B0: D3E10024 1C920944
	s_add_u32 m0, 0x200, s44                                   // 0000000037B8: 807C2CFF 00000200
	buffer_load_dword v19, s[4:7], 0 offen lds                 // 0000000037C0: E0511000 80010013
	v_mfma_f32_16x16x16_bf16 v[36:39], a[70:71], a[6:7], v[36:39]// 0000000037C8: D3E10024 1C920D46
	s_add_u32 m0, 0x300, s44                                   // 0000000037D0: 807C2CFF 00000300
	buffer_load_dword v20, s[4:7], 0 offen lds                 // 0000000037D8: E0511000 80010014
	ds_read_b128 a[40:43], v25 offset:512                      // 0000000037E0: DBFE0200 28000019
	ds_read_b128 a[44:47], v25 offset:576                      // 0000000037E8: DBFE0240 2C000019
	v_mfma_f32_16x16x16_bf16 v[40:43], a[64:65], a[8:9], v[40:43]// 0000000037F0: D3E10028 1CA21140
	s_add_u32 m0, 0x400, s44                                   // 0000000037F8: 807C2CFF 00000400
	buffer_load_dword v21, s[4:7], 0 offen lds                 // 000000003800: E0511000 80010015
	v_mfma_f32_16x16x16_bf16 v[40:43], a[66:67], a[10:11], v[40:43]// 000000003808: D3E10028 1CA21542
	s_add_u32 m0, 0x500, s44                                   // 000000003810: 807C2CFF 00000500
	buffer_load_dword v22, s[4:7], 0 offen lds                 // 000000003818: E0511000 80010016
	ds_read_b128 a[48:51], v25 offset:1024                     // 000000003820: DBFE0400 30000019
	ds_read_b128 a[52:55], v25 offset:1088                     // 000000003828: DBFE0440 34000019
	v_mfma_f32_16x16x16_bf16 v[40:43], a[68:69], a[12:13], v[40:43]// 000000003830: D3E10028 1CA21944
	s_add_u32 m0, 0x600, s44                                   // 000000003838: 807C2CFF 00000600
	buffer_load_dword v23, s[4:7], 0 offen lds                 // 000000003840: E0511000 80010017
	v_mfma_f32_16x16x16_bf16 v[40:43], a[70:71], a[14:15], v[40:43]// 000000003848: D3E10028 1CA21D46
	s_add_u32 m0, 0x700, s44                                   // 000000003850: 807C2CFF 00000700
	buffer_load_dword v24, s[4:7], 0 offen lds                 // 000000003858: E0511000 80010018
	ds_read_b128 a[56:59], v25 offset:1536                     // 000000003860: DBFE0600 38000019
	ds_read_b128 a[60:63], v25 offset:1600                     // 000000003868: DBFE0640 3C000019
	v_mfma_f32_16x16x16_bf16 v[44:47], a[64:65], a[16:17], v[44:47]// 000000003870: D3E1002C 1CB22140
	s_add_u32 s31, 0x100, s33                                  // 000000003878: 801F21FF 00000100
	s_cmp_lt_u32 s31, s34                                      // 000000003880: BF0A221F
	s_cselect_b32 s40, s40, 0                                  // 000000003884: 85288028
	s_add_u32 m0, 0, s47                                       // 000000003888: 807C2F80
	buffer_load_dword v26, s[8:11], 0 offen lds                // 00000000388C: E0511000 8002001A
	v_mfma_f32_16x16x16_bf16 v[44:47], a[66:67], a[18:19], v[44:47]// 000000003894: D3E1002C 1CB22542
	s_add_u32 m0, 0x100, s47                                   // 00000000389C: 807C2FFF 00000100
	buffer_load_dword v27, s[8:11], 0 offen lds                // 0000000038A4: E0511000 8002001B
	s_add_u32 s4, s40, s4                                      // 0000000038AC: 80040428
	s_addc_u32 s5, 0, s5                                       // 0000000038B0: 82050580
	ds_read_b128 a[72:75], v34 offset:24960                    // 0000000038B4: DBFE6180 48000022
	ds_read_b128 a[76:79], v34 offset:25024                    // 0000000038BC: DBFE61C0 4C000022
	v_mfma_f32_16x16x16_bf16 v[44:47], a[68:69], a[20:21], v[44:47]// 0000000038C4: D3E1002C 1CB22944
	s_add_u32 m0, 0x200, s47                                   // 0000000038CC: 807C2FFF 00000200
	buffer_load_dword v28, s[8:11], 0 offen lds                // 0000000038D4: E0511000 8002001C
	v_mfma_f32_16x16x16_bf16 v[44:47], a[70:71], a[22:23], v[44:47]// 0000000038DC: D3E1002C 1CB22D46
	s_add_u32 m0, 0x300, s47                                   // 0000000038E4: 807C2FFF 00000300
	buffer_load_dword v29, s[8:11], 0 offen lds                // 0000000038EC: E0511000 8002001D
	v_mfma_f32_16x16x16_bf16 v[48:51], a[64:65], a[24:25], v[48:51]// 0000000038F4: D3E10030 1CC23140
	s_add_u32 m0, 0x400, s47                                   // 0000000038FC: 807C2FFF 00000400
	buffer_load_dword v30, s[8:11], 0 offen lds                // 000000003904: E0511000 8002001E
	v_mfma_f32_16x16x16_bf16 v[48:51], a[66:67], a[26:27], v[48:51]// 00000000390C: D3E10030 1CC23542
	s_add_u32 m0, 0x500, s47                                   // 000000003914: 807C2FFF 00000500
	buffer_load_dword v31, s[8:11], 0 offen lds                // 00000000391C: E0511000 8002001F
	v_mfma_f32_16x16x16_bf16 v[48:51], a[68:69], a[28:29], v[48:51]// 000000003924: D3E10030 1CC23944
	s_add_u32 m0, 0x600, s47                                   // 00000000392C: 807C2FFF 00000600
	buffer_load_dword v32, s[8:11], 0 offen lds                // 000000003934: E0511000 80020020
	v_mfma_f32_16x16x16_bf16 v[48:51], a[70:71], a[30:31], v[48:51]// 00000000393C: D3E10030 1CC23D46
	s_add_u32 m0, 0x700, s47                                   // 000000003944: 807C2FFF 00000700
	buffer_load_dword v33, s[8:11], 0 offen lds                // 00000000394C: E0511000 80020021
	s_add_u32 s31, 0x100, s33                                  // 000000003954: 801F21FF 00000100
	s_cmp_lt_u32 s31, s34                                      // 00000000395C: BF0A221F
	s_cselect_b32 s41, s41, 0                                  // 000000003960: 85298029
	s_add_u32 s8, s41, s8                                      // 000000003964: 80080829
	s_addc_u32 s9, 0, s9                                       // 000000003968: 82090980
	s_addk_i32 s33, 0x40                                       // 00000000396C: B7210040
	s_cmp_lt_i32 s33, s34                                      // 000000003970: BF042221
	s_cbranch_scc0 label_08BB                                  // 000000003974: BF84049D
	s_waitcnt vmcnt(16) lgkmcnt(0)                             // 000000003978: BF8C4070
	s_barrier                                                  // 00000000397C: BF8A0000
	v_mfma_f32_16x16x16_bf16 v[36:39], a[72:73], a[32:33], v[36:39]// 000000003980: D3E10024 1C924148
	s_add_u32 m0, 0, s42                                       // 000000003988: 807C2A80
	buffer_load_dword v17, s[4:7], 0 offen lds                 // 00000000398C: E0511000 80010011
	v_mfma_f32_16x16x16_bf16 v[36:39], a[74:75], a[34:35], v[36:39]// 000000003994: D3E10024 1C92454A
	s_add_u32 m0, 0x100, s42                                   // 00000000399C: 807C2AFF 00000100
	buffer_load_dword v18, s[4:7], 0 offen lds                 // 0000000039A4: E0511000 80010012
	ds_read_b128 a[0:3], v25 offset:8320                       // 0000000039AC: DBFE2080 00000019
	ds_read_b128 a[4:7], v25 offset:8384                       // 0000000039B4: DBFE20C0 04000019
	v_mfma_f32_16x16x16_bf16 v[36:39], a[76:77], a[36:37], v[36:39]// 0000000039BC: D3E10024 1C92494C
	s_add_u32 m0, 0x200, s42                                   // 0000000039C4: 807C2AFF 00000200
	buffer_load_dword v19, s[4:7], 0 offen lds                 // 0000000039CC: E0511000 80010013
	v_mfma_f32_16x16x16_bf16 v[36:39], a[78:79], a[38:39], v[36:39]// 0000000039D4: D3E10024 1C924D4E
	s_add_u32 m0, 0x300, s42                                   // 0000000039DC: 807C2AFF 00000300
	buffer_load_dword v20, s[4:7], 0 offen lds                 // 0000000039E4: E0511000 80010014
	ds_read_b128 a[8:11], v25 offset:8832                      // 0000000039EC: DBFE2280 08000019
	ds_read_b128 a[12:15], v25 offset:8896                     // 0000000039F4: DBFE22C0 0C000019
	v_mfma_f32_16x16x16_bf16 v[40:43], a[72:73], a[40:41], v[40:43]// 0000000039FC: D3E10028 1CA25148
	s_add_u32 m0, 0x400, s42                                   // 000000003A04: 807C2AFF 00000400
	buffer_load_dword v21, s[4:7], 0 offen lds                 // 000000003A0C: E0511000 80010015
	v_mfma_f32_16x16x16_bf16 v[40:43], a[74:75], a[42:43], v[40:43]// 000000003A14: D3E10028 1CA2554A
	s_add_u32 m0, 0x500, s42                                   // 000000003A1C: 807C2AFF 00000500
	buffer_load_dword v22, s[4:7], 0 offen lds                 // 000000003A24: E0511000 80010016
	ds_read_b128 a[16:19], v25 offset:9344                     // 000000003A2C: DBFE2480 10000019
	ds_read_b128 a[20:23], v25 offset:9408                     // 000000003A34: DBFE24C0 14000019
	v_mfma_f32_16x16x16_bf16 v[40:43], a[76:77], a[44:45], v[40:43]// 000000003A3C: D3E10028 1CA2594C
	s_add_u32 m0, 0x600, s42                                   // 000000003A44: 807C2AFF 00000600
	buffer_load_dword v23, s[4:7], 0 offen lds                 // 000000003A4C: E0511000 80010017
	v_mfma_f32_16x16x16_bf16 v[40:43], a[78:79], a[46:47], v[40:43]// 000000003A54: D3E10028 1CA25D4E
	s_add_u32 m0, 0x700, s42                                   // 000000003A5C: 807C2AFF 00000700
	buffer_load_dword v24, s[4:7], 0 offen lds                 // 000000003A64: E0511000 80010018
	ds_read_b128 a[24:27], v25 offset:9856                     // 000000003A6C: DBFE2680 18000019
	ds_read_b128 a[28:31], v25 offset:9920                     // 000000003A74: DBFE26C0 1C000019
	v_mfma_f32_16x16x16_bf16 v[44:47], a[72:73], a[48:49], v[44:47]// 000000003A7C: D3E1002C 1CB26148
	s_add_u32 s31, 0x100, s33                                  // 000000003A84: 801F21FF 00000100
	s_cmp_lt_u32 s31, s34                                      // 000000003A8C: BF0A221F
	s_cselect_b32 s40, s40, 0                                  // 000000003A90: 85288028
	s_add_u32 m0, 0, s45                                       // 000000003A94: 807C2D80
	buffer_load_dword v26, s[8:11], 0 offen lds                // 000000003A98: E0511000 8002001A
	v_mfma_f32_16x16x16_bf16 v[44:47], a[74:75], a[50:51], v[44:47]// 000000003AA0: D3E1002C 1CB2654A
	s_add_u32 m0, 0x100, s45                                   // 000000003AA8: 807C2DFF 00000100
	buffer_load_dword v27, s[8:11], 0 offen lds                // 000000003AB0: E0511000 8002001B
	s_add_u32 s4, s40, s4                                      // 000000003AB8: 80040428
	s_addc_u32 s5, 0, s5                                       // 000000003ABC: 82050580
	ds_read_b128 a[64:67], v34 offset:33280                    // 000000003AC0: DBFE8200 40000022
	ds_read_b128 a[68:71], v34 offset:33344                    // 000000003AC8: DBFE8240 44000022
	v_mfma_f32_16x16x16_bf16 v[44:47], a[76:77], a[52:53], v[44:47]// 000000003AD0: D3E1002C 1CB2694C
	s_add_u32 m0, 0x200, s45                                   // 000000003AD8: 807C2DFF 00000200
	buffer_load_dword v28, s[8:11], 0 offen lds                // 000000003AE0: E0511000 8002001C
	v_mfma_f32_16x16x16_bf16 v[44:47], a[78:79], a[54:55], v[44:47]// 000000003AE8: D3E1002C 1CB26D4E
	s_add_u32 m0, 0x300, s45                                   // 000000003AF0: 807C2DFF 00000300
	buffer_load_dword v29, s[8:11], 0 offen lds                // 000000003AF8: E0511000 8002001D
	v_mfma_f32_16x16x16_bf16 v[48:51], a[72:73], a[56:57], v[48:51]// 000000003B00: D3E10030 1CC27148
	s_add_u32 m0, 0x400, s45                                   // 000000003B08: 807C2DFF 00000400
	buffer_load_dword v30, s[8:11], 0 offen lds                // 000000003B10: E0511000 8002001E
	v_mfma_f32_16x16x16_bf16 v[48:51], a[74:75], a[58:59], v[48:51]// 000000003B18: D3E10030 1CC2754A
	s_add_u32 m0, 0x500, s45                                   // 000000003B20: 807C2DFF 00000500
	buffer_load_dword v31, s[8:11], 0 offen lds                // 000000003B28: E0511000 8002001F
	v_mfma_f32_16x16x16_bf16 v[48:51], a[76:77], a[60:61], v[48:51]// 000000003B30: D3E10030 1CC2794C
	s_add_u32 m0, 0x600, s45                                   // 000000003B38: 807C2DFF 00000600
	buffer_load_dword v32, s[8:11], 0 offen lds                // 000000003B40: E0511000 80020020
	v_mfma_f32_16x16x16_bf16 v[48:51], a[78:79], a[62:63], v[48:51]// 000000003B48: D3E10030 1CC27D4E
	s_add_u32 m0, 0x700, s45                                   // 000000003B50: 807C2DFF 00000700
	buffer_load_dword v33, s[8:11], 0 offen lds                // 000000003B58: E0511000 80020021
	s_add_u32 s31, 0x100, s33                                  // 000000003B60: 801F21FF 00000100
	s_cmp_lt_u32 s31, s34                                      // 000000003B68: BF0A221F
	s_cselect_b32 s41, s41, 0                                  // 000000003B6C: 85298029
	s_add_u32 s8, s41, s8                                      // 000000003B70: 80080829
	s_addc_u32 s9, 0, s9                                       // 000000003B74: 82090980
	s_addk_i32 s33, 0x40                                       // 000000003B78: B7210040
	s_cmp_lt_i32 s33, s34                                      // 000000003B7C: BF042221
	s_cbranch_scc0 label_08BB                                  // 000000003B80: BF84041A
	s_waitcnt vmcnt(16) lgkmcnt(0)                             // 000000003B84: BF8C4070
	s_barrier                                                  // 000000003B88: BF8A0000
	v_mfma_f32_16x16x16_bf16 v[36:39], a[64:65], a[0:1], v[36:39]// 000000003B8C: D3E10024 1C920140
	s_add_u32 m0, 0, s43                                       // 000000003B94: 807C2B80
	buffer_load_dword v17, s[4:7], 0 offen lds                 // 000000003B98: E0511000 80010011
	v_mfma_f32_16x16x16_bf16 v[36:39], a[66:67], a[2:3], v[36:39]// 000000003BA0: D3E10024 1C920542
	s_add_u32 m0, 0x100, s43                                   // 000000003BA8: 807C2BFF 00000100
	buffer_load_dword v18, s[4:7], 0 offen lds                 // 000000003BB0: E0511000 80010012
	ds_read_b128 a[32:35], v25 offset:16640                    // 000000003BB8: DBFE4100 20000019
	ds_read_b128 a[36:39], v25 offset:16704                    // 000000003BC0: DBFE4140 24000019
	v_mfma_f32_16x16x16_bf16 v[36:39], a[68:69], a[4:5], v[36:39]// 000000003BC8: D3E10024 1C920944
	s_add_u32 m0, 0x200, s43                                   // 000000003BD0: 807C2BFF 00000200
	buffer_load_dword v19, s[4:7], 0 offen lds                 // 000000003BD8: E0511000 80010013
	v_mfma_f32_16x16x16_bf16 v[36:39], a[70:71], a[6:7], v[36:39]// 000000003BE0: D3E10024 1C920D46
	s_add_u32 m0, 0x300, s43                                   // 000000003BE8: 807C2BFF 00000300
	buffer_load_dword v20, s[4:7], 0 offen lds                 // 000000003BF0: E0511000 80010014
	ds_read_b128 a[40:43], v25 offset:17152                    // 000000003BF8: DBFE4300 28000019
	ds_read_b128 a[44:47], v25 offset:17216                    // 000000003C00: DBFE4340 2C000019
	v_mfma_f32_16x16x16_bf16 v[40:43], a[64:65], a[8:9], v[40:43]// 000000003C08: D3E10028 1CA21140
	s_add_u32 m0, 0x400, s43                                   // 000000003C10: 807C2BFF 00000400
	buffer_load_dword v21, s[4:7], 0 offen lds                 // 000000003C18: E0511000 80010015
	v_mfma_f32_16x16x16_bf16 v[40:43], a[66:67], a[10:11], v[40:43]// 000000003C20: D3E10028 1CA21542
	s_add_u32 m0, 0x500, s43                                   // 000000003C28: 807C2BFF 00000500
	buffer_load_dword v22, s[4:7], 0 offen lds                 // 000000003C30: E0511000 80010016
	ds_read_b128 a[48:51], v25 offset:17664                    // 000000003C38: DBFE4500 30000019
	ds_read_b128 a[52:55], v25 offset:17728                    // 000000003C40: DBFE4540 34000019
	v_mfma_f32_16x16x16_bf16 v[40:43], a[68:69], a[12:13], v[40:43]// 000000003C48: D3E10028 1CA21944
	s_add_u32 m0, 0x600, s43                                   // 000000003C50: 807C2BFF 00000600
	buffer_load_dword v23, s[4:7], 0 offen lds                 // 000000003C58: E0511000 80010017
	v_mfma_f32_16x16x16_bf16 v[40:43], a[70:71], a[14:15], v[40:43]// 000000003C60: D3E10028 1CA21D46
	s_add_u32 m0, 0x700, s43                                   // 000000003C68: 807C2BFF 00000700
	buffer_load_dword v24, s[4:7], 0 offen lds                 // 000000003C70: E0511000 80010018
	ds_read_b128 a[56:59], v25 offset:18176                    // 000000003C78: DBFE4700 38000019
	ds_read_b128 a[60:63], v25 offset:18240                    // 000000003C80: DBFE4740 3C000019
	v_mfma_f32_16x16x16_bf16 v[44:47], a[64:65], a[16:17], v[44:47]// 000000003C88: D3E1002C 1CB22140
	s_add_u32 s31, 0x100, s33                                  // 000000003C90: 801F21FF 00000100
	s_cmp_lt_u32 s31, s34                                      // 000000003C98: BF0A221F
	s_cselect_b32 s40, s40, 0                                  // 000000003C9C: 85288028
	s_add_u32 m0, 0, s46                                       // 000000003CA0: 807C2E80
	buffer_load_dword v26, s[8:11], 0 offen lds                // 000000003CA4: E0511000 8002001A
	v_mfma_f32_16x16x16_bf16 v[44:47], a[66:67], a[18:19], v[44:47]// 000000003CAC: D3E1002C 1CB22542
	s_add_u32 m0, 0x100, s46                                   // 000000003CB4: 807C2EFF 00000100
	buffer_load_dword v27, s[8:11], 0 offen lds                // 000000003CBC: E0511000 8002001B
	s_add_u32 s4, s40, s4                                      // 000000003CC4: 80040428
	s_addc_u32 s5, 0, s5                                       // 000000003CC8: 82050580
	ds_read_b128 a[72:75], v34 offset:41600                    // 000000003CCC: DBFEA280 48000022
	ds_read_b128 a[76:79], v34 offset:41664                    // 000000003CD4: DBFEA2C0 4C000022
	v_mfma_f32_16x16x16_bf16 v[44:47], a[68:69], a[20:21], v[44:47]// 000000003CDC: D3E1002C 1CB22944
	s_add_u32 m0, 0x200, s46                                   // 000000003CE4: 807C2EFF 00000200
	buffer_load_dword v28, s[8:11], 0 offen lds                // 000000003CEC: E0511000 8002001C
	v_mfma_f32_16x16x16_bf16 v[44:47], a[70:71], a[22:23], v[44:47]// 000000003CF4: D3E1002C 1CB22D46
	s_add_u32 m0, 0x300, s46                                   // 000000003CFC: 807C2EFF 00000300
	buffer_load_dword v29, s[8:11], 0 offen lds                // 000000003D04: E0511000 8002001D
	v_mfma_f32_16x16x16_bf16 v[48:51], a[64:65], a[24:25], v[48:51]// 000000003D0C: D3E10030 1CC23140
	s_add_u32 m0, 0x400, s46                                   // 000000003D14: 807C2EFF 00000400
	buffer_load_dword v30, s[8:11], 0 offen lds                // 000000003D1C: E0511000 8002001E
	v_mfma_f32_16x16x16_bf16 v[48:51], a[66:67], a[26:27], v[48:51]// 000000003D24: D3E10030 1CC23542
	s_add_u32 m0, 0x500, s46                                   // 000000003D2C: 807C2EFF 00000500
	buffer_load_dword v31, s[8:11], 0 offen lds                // 000000003D34: E0511000 8002001F
	v_mfma_f32_16x16x16_bf16 v[48:51], a[68:69], a[28:29], v[48:51]// 000000003D3C: D3E10030 1CC23944
	s_add_u32 m0, 0x600, s46                                   // 000000003D44: 807C2EFF 00000600
	buffer_load_dword v32, s[8:11], 0 offen lds                // 000000003D4C: E0511000 80020020
	v_mfma_f32_16x16x16_bf16 v[48:51], a[70:71], a[30:31], v[48:51]// 000000003D54: D3E10030 1CC23D46
	s_add_u32 m0, 0x700, s46                                   // 000000003D5C: 807C2EFF 00000700
	buffer_load_dword v33, s[8:11], 0 offen lds                // 000000003D64: E0511000 80020021
	s_add_u32 s31, 0x100, s33                                  // 000000003D6C: 801F21FF 00000100
	s_cmp_lt_u32 s31, s34                                      // 000000003D74: BF0A221F
	s_cselect_b32 s41, s41, 0                                  // 000000003D78: 85298029
	s_add_u32 s8, s41, s8                                      // 000000003D7C: 80080829
	s_addc_u32 s9, 0, s9                                       // 000000003D80: 82090980
	s_addk_i32 s33, 0x40                                       // 000000003D84: B7210040
	s_cmp_lt_i32 s33, s34                                      // 000000003D88: BF042221
	s_cbranch_scc0 label_08BB                                  // 000000003D8C: BF840397
	s_waitcnt vmcnt(16) lgkmcnt(0)                             // 000000003D90: BF8C4070
	s_barrier                                                  // 000000003D94: BF8A0000
	v_mfma_f32_16x16x16_bf16 v[36:39], a[72:73], a[32:33], v[36:39]// 000000003D98: D3E10024 1C924148
	s_add_u32 m0, 0, s44                                       // 000000003DA0: 807C2C80
	buffer_load_dword v17, s[4:7], 0 offen lds                 // 000000003DA4: E0511000 80010011
	v_mfma_f32_16x16x16_bf16 v[36:39], a[74:75], a[34:35], v[36:39]// 000000003DAC: D3E10024 1C92454A
	s_add_u32 m0, 0x100, s44                                   // 000000003DB4: 807C2CFF 00000100
	buffer_load_dword v18, s[4:7], 0 offen lds                 // 000000003DBC: E0511000 80010012
	ds_read_b128 a[0:3], v25                                   // 000000003DC4: DBFE0000 00000019
	ds_read_b128 a[4:7], v25 offset:64                         // 000000003DCC: DBFE0040 04000019
	v_mfma_f32_16x16x16_bf16 v[36:39], a[76:77], a[36:37], v[36:39]// 000000003DD4: D3E10024 1C92494C
	s_add_u32 m0, 0x200, s44                                   // 000000003DDC: 807C2CFF 00000200
	buffer_load_dword v19, s[4:7], 0 offen lds                 // 000000003DE4: E0511000 80010013
	v_mfma_f32_16x16x16_bf16 v[36:39], a[78:79], a[38:39], v[36:39]// 000000003DEC: D3E10024 1C924D4E
	s_add_u32 m0, 0x300, s44                                   // 000000003DF4: 807C2CFF 00000300
	buffer_load_dword v20, s[4:7], 0 offen lds                 // 000000003DFC: E0511000 80010014
	ds_read_b128 a[8:11], v25 offset:512                       // 000000003E04: DBFE0200 08000019
	ds_read_b128 a[12:15], v25 offset:576                      // 000000003E0C: DBFE0240 0C000019
	v_mfma_f32_16x16x16_bf16 v[40:43], a[72:73], a[40:41], v[40:43]// 000000003E14: D3E10028 1CA25148
	s_add_u32 m0, 0x400, s44                                   // 000000003E1C: 807C2CFF 00000400
	buffer_load_dword v21, s[4:7], 0 offen lds                 // 000000003E24: E0511000 80010015
	v_mfma_f32_16x16x16_bf16 v[40:43], a[74:75], a[42:43], v[40:43]// 000000003E2C: D3E10028 1CA2554A
	s_add_u32 m0, 0x500, s44                                   // 000000003E34: 807C2CFF 00000500
	buffer_load_dword v22, s[4:7], 0 offen lds                 // 000000003E3C: E0511000 80010016
	ds_read_b128 a[16:19], v25 offset:1024                     // 000000003E44: DBFE0400 10000019
	ds_read_b128 a[20:23], v25 offset:1088                     // 000000003E4C: DBFE0440 14000019
	v_mfma_f32_16x16x16_bf16 v[40:43], a[76:77], a[44:45], v[40:43]// 000000003E54: D3E10028 1CA2594C
	s_add_u32 m0, 0x600, s44                                   // 000000003E5C: 807C2CFF 00000600
	buffer_load_dword v23, s[4:7], 0 offen lds                 // 000000003E64: E0511000 80010017
	v_mfma_f32_16x16x16_bf16 v[40:43], a[78:79], a[46:47], v[40:43]// 000000003E6C: D3E10028 1CA25D4E
	s_add_u32 m0, 0x700, s44                                   // 000000003E74: 807C2CFF 00000700
	buffer_load_dword v24, s[4:7], 0 offen lds                 // 000000003E7C: E0511000 80010018
	ds_read_b128 a[24:27], v25 offset:1536                     // 000000003E84: DBFE0600 18000019
	ds_read_b128 a[28:31], v25 offset:1600                     // 000000003E8C: DBFE0640 1C000019
	v_mfma_f32_16x16x16_bf16 v[44:47], a[72:73], a[48:49], v[44:47]// 000000003E94: D3E1002C 1CB26148
	s_add_u32 s31, 0x100, s33                                  // 000000003E9C: 801F21FF 00000100
	s_cmp_lt_u32 s31, s34                                      // 000000003EA4: BF0A221F
	s_cselect_b32 s40, s40, 0                                  // 000000003EA8: 85288028
	s_add_u32 m0, 0, s47                                       // 000000003EAC: 807C2F80
	buffer_load_dword v26, s[8:11], 0 offen lds                // 000000003EB0: E0511000 8002001A
	v_mfma_f32_16x16x16_bf16 v[44:47], a[74:75], a[50:51], v[44:47]// 000000003EB8: D3E1002C 1CB2654A
	s_add_u32 m0, 0x100, s47                                   // 000000003EC0: 807C2FFF 00000100
	buffer_load_dword v27, s[8:11], 0 offen lds                // 000000003EC8: E0511000 8002001B
	s_add_u32 s4, s40, s4                                      // 000000003ED0: 80040428
	s_addc_u32 s5, 0, s5                                       // 000000003ED4: 82050580
	ds_read_b128 a[64:67], v34 offset:24960                    // 000000003ED8: DBFE6180 40000022
	ds_read_b128 a[68:71], v34 offset:25024                    // 000000003EE0: DBFE61C0 44000022
	v_mfma_f32_16x16x16_bf16 v[44:47], a[76:77], a[52:53], v[44:47]// 000000003EE8: D3E1002C 1CB2694C
	s_add_u32 m0, 0x200, s47                                   // 000000003EF0: 807C2FFF 00000200
	buffer_load_dword v28, s[8:11], 0 offen lds                // 000000003EF8: E0511000 8002001C
	v_mfma_f32_16x16x16_bf16 v[44:47], a[78:79], a[54:55], v[44:47]// 000000003F00: D3E1002C 1CB26D4E
	s_add_u32 m0, 0x300, s47                                   // 000000003F08: 807C2FFF 00000300
	buffer_load_dword v29, s[8:11], 0 offen lds                // 000000003F10: E0511000 8002001D
	v_mfma_f32_16x16x16_bf16 v[48:51], a[72:73], a[56:57], v[48:51]// 000000003F18: D3E10030 1CC27148
	s_add_u32 m0, 0x400, s47                                   // 000000003F20: 807C2FFF 00000400
	buffer_load_dword v30, s[8:11], 0 offen lds                // 000000003F28: E0511000 8002001E
	v_mfma_f32_16x16x16_bf16 v[48:51], a[74:75], a[58:59], v[48:51]// 000000003F30: D3E10030 1CC2754A
	s_add_u32 m0, 0x500, s47                                   // 000000003F38: 807C2FFF 00000500
	buffer_load_dword v31, s[8:11], 0 offen lds                // 000000003F40: E0511000 8002001F
	v_mfma_f32_16x16x16_bf16 v[48:51], a[76:77], a[60:61], v[48:51]// 000000003F48: D3E10030 1CC2794C
	s_add_u32 m0, 0x600, s47                                   // 000000003F50: 807C2FFF 00000600
	buffer_load_dword v32, s[8:11], 0 offen lds                // 000000003F58: E0511000 80020020
	v_mfma_f32_16x16x16_bf16 v[48:51], a[78:79], a[62:63], v[48:51]// 000000003F60: D3E10030 1CC27D4E
	s_add_u32 m0, 0x700, s47                                   // 000000003F68: 807C2FFF 00000700
	buffer_load_dword v33, s[8:11], 0 offen lds                // 000000003F70: E0511000 80020021
	s_add_u32 s31, 0x100, s33                                  // 000000003F78: 801F21FF 00000100
	s_cmp_lt_u32 s31, s34                                      // 000000003F80: BF0A221F
	s_cselect_b32 s41, s41, 0                                  // 000000003F84: 85298029
	s_add_u32 s8, s41, s8                                      // 000000003F88: 80080829
	s_addc_u32 s9, 0, s9                                       // 000000003F8C: 82090980
	s_addk_i32 s33, 0x40                                       // 000000003F90: B7210040
	s_cmp_lt_i32 s33, s34                                      // 000000003F94: BF042221
	s_cbranch_scc0 label_08BB                                  // 000000003F98: BF840314
	s_branch label_0295                                        // 000000003F9C: BF82FCED

0000000000003fa0 <label_05A8>:
	s_waitcnt vmcnt(16) lgkmcnt(0)                             // 000000003FA0: BF8C4070
	s_barrier                                                  // 000000003FA4: BF8A0000
	v_mfma_f32_16x16x16_bf16 v[36:39], a[64:65], a[0:1], v[36:39]// 000000003FA8: D3E10024 1C920140
	s_add_u32 m0, 0, s42                                       // 000000003FB0: 807C2A80
	buffer_load_dword v17, s[4:7], 0 offen lds                 // 000000003FB4: E0511000 80010011
	ds_read_b128 a[32:35], v25 offset:8320                     // 000000003FBC: DBFE2080 20000019
	ds_read_b128 a[36:39], v25 offset:8384                     // 000000003FC4: DBFE20C0 24000019
	v_mfma_f32_16x16x16_bf16 v[36:39], a[66:67], a[2:3], v[36:39]// 000000003FCC: D3E10024 1C920542
	s_add_u32 m0, 0x100, s42                                   // 000000003FD4: 807C2AFF 00000100
	buffer_load_dword v18, s[4:7], 0 offen lds                 // 000000003FDC: E0511000 80010012
	v_mfma_f32_16x16x16_bf16 v[36:39], a[68:69], a[4:5], v[36:39]// 000000003FE4: D3E10024 1C920944
	s_add_u32 m0, 0x200, s42                                   // 000000003FEC: 807C2AFF 00000200
	buffer_load_dword v19, s[4:7], 0 offen lds                 // 000000003FF4: E0511000 80010013
	ds_read_b128 a[40:43], v25 offset:8832                     // 000000003FFC: DBFE2280 28000019
	ds_read_b128 a[44:47], v25 offset:8896                     // 000000004004: DBFE22C0 2C000019
	v_mfma_f32_16x16x16_bf16 v[36:39], a[70:71], a[6:7], v[36:39]// 00000000400C: D3E10024 1C920D46
	s_add_u32 m0, 0x300, s42                                   // 000000004014: 807C2AFF 00000300
	buffer_load_dword v20, s[4:7], 0 offen lds                 // 00000000401C: E0511000 80010014
	v_mfma_f32_16x16x16_bf16 v[40:43], a[64:65], a[8:9], v[40:43]// 000000004024: D3E10028 1CA21140
	s_add_u32 m0, 0x400, s42                                   // 00000000402C: 807C2AFF 00000400
	buffer_load_dword v21, s[4:7], 0 offen lds                 // 000000004034: E0511000 80010015
	ds_read_b128 a[48:51], v25 offset:9344                     // 00000000403C: DBFE2480 30000019
	ds_read_b128 a[52:55], v25 offset:9408                     // 000000004044: DBFE24C0 34000019
	v_mfma_f32_16x16x16_bf16 v[40:43], a[66:67], a[10:11], v[40:43]// 00000000404C: D3E10028 1CA21542
	s_add_u32 m0, 0x500, s42                                   // 000000004054: 807C2AFF 00000500
	buffer_load_dword v22, s[4:7], 0 offen lds                 // 00000000405C: E0511000 80010016
	v_mfma_f32_16x16x16_bf16 v[40:43], a[68:69], a[12:13], v[40:43]// 000000004064: D3E10028 1CA21944
	s_add_u32 m0, 0x600, s42                                   // 00000000406C: 807C2AFF 00000600
	buffer_load_dword v23, s[4:7], 0 offen lds                 // 000000004074: E0511000 80010017
	ds_read_b128 a[56:59], v25 offset:9856                     // 00000000407C: DBFE2680 38000019
	ds_read_b128 a[60:63], v25 offset:9920                     // 000000004084: DBFE26C0 3C000019
	v_mfma_f32_16x16x16_bf16 v[40:43], a[70:71], a[14:15], v[40:43]// 00000000408C: D3E10028 1CA21D46
	s_add_u32 m0, 0x700, s42                                   // 000000004094: 807C2AFF 00000700
	buffer_load_dword v24, s[4:7], 0 offen lds                 // 00000000409C: E0511000 80010018
	v_mfma_f32_16x16x16_bf16 v[44:47], a[64:65], a[16:17], v[44:47]// 0000000040A4: D3E1002C 1CB22140
	s_add_u32 s31, 0x100, s33                                  // 0000000040AC: 801F21FF 00000100
	s_cmp_lt_u32 s31, s34                                      // 0000000040B4: BF0A221F
	s_cselect_b32 s40, s40, 0                                  // 0000000040B8: 85288028
	s_add_u32 m0, 0, s45                                       // 0000000040BC: 807C2D80
	buffer_load_dword v26, s[8:11], 0 offen lds                // 0000000040C0: E0511000 8002001A
	s_add_u32 s4, s40, s4                                      // 0000000040C8: 80040428
	s_addc_u32 s5, 0, s5                                       // 0000000040CC: 82050580
	ds_read_b128 a[72:75], v34 offset:33280                    // 0000000040D0: DBFE8200 48000022
	ds_read_b128 a[76:79], v34 offset:33344                    // 0000000040D8: DBFE8240 4C000022
	v_mfma_f32_16x16x16_bf16 v[44:47], a[66:67], a[18:19], v[44:47]// 0000000040E0: D3E1002C 1CB22542
	s_add_u32 m0, 0x100, s45                                   // 0000000040E8: 807C2DFF 00000100
	buffer_load_dword v27, s[8:11], 0 offen lds                // 0000000040F0: E0511000 8002001B
	v_mfma_f32_16x16x16_bf16 v[44:47], a[68:69], a[20:21], v[44:47]// 0000000040F8: D3E1002C 1CB22944
	s_add_u32 m0, 0x200, s45                                   // 000000004100: 807C2DFF 00000200
	buffer_load_dword v28, s[8:11], 0 offen lds                // 000000004108: E0511000 8002001C
	v_mfma_f32_16x16x16_bf16 v[44:47], a[70:71], a[22:23], v[44:47]// 000000004110: D3E1002C 1CB22D46
	s_add_u32 m0, 0x300, s45                                   // 000000004118: 807C2DFF 00000300
	buffer_load_dword v29, s[8:11], 0 offen lds                // 000000004120: E0511000 8002001D
	v_mfma_f32_16x16x16_bf16 v[48:51], a[64:65], a[24:25], v[48:51]// 000000004128: D3E10030 1CC23140
	s_add_u32 m0, 0x400, s45                                   // 000000004130: 807C2DFF 00000400
	buffer_load_dword v30, s[8:11], 0 offen lds                // 000000004138: E0511000 8002001E
	v_mfma_f32_16x16x16_bf16 v[48:51], a[66:67], a[26:27], v[48:51]// 000000004140: D3E10030 1CC23542
	s_add_u32 m0, 0x500, s45                                   // 000000004148: 807C2DFF 00000500
	buffer_load_dword v31, s[8:11], 0 offen lds                // 000000004150: E0511000 8002001F
	v_mfma_f32_16x16x16_bf16 v[48:51], a[68:69], a[28:29], v[48:51]// 000000004158: D3E10030 1CC23944
	s_add_u32 m0, 0x600, s45                                   // 000000004160: 807C2DFF 00000600
	buffer_load_dword v32, s[8:11], 0 offen lds                // 000000004168: E0511000 80020020
	v_mfma_f32_16x16x16_bf16 v[48:51], a[70:71], a[30:31], v[48:51]// 000000004170: D3E10030 1CC23D46
	s_add_u32 m0, 0x700, s45                                   // 000000004178: 807C2DFF 00000700
	buffer_load_dword v33, s[8:11], 0 offen lds                // 000000004180: E0511000 80020021
	s_add_u32 s31, 0x100, s33                                  // 000000004188: 801F21FF 00000100
	s_cmp_lt_u32 s31, s34                                      // 000000004190: BF0A221F
	s_cselect_b32 s41, s41, 0                                  // 000000004194: 85298029
	s_add_u32 s8, s41, s8                                      // 000000004198: 80080829
	s_addc_u32 s9, 0, s9                                       // 00000000419C: 82090980
	s_addk_i32 s33, 0x40                                       // 0000000041A0: B7210040
	s_cmp_lt_i32 s33, s34                                      // 0000000041A4: BF042221
	s_cbranch_scc0 label_08BB                                  // 0000000041A8: BF840290
	s_waitcnt vmcnt(16) lgkmcnt(0)                             // 0000000041AC: BF8C4070
	s_barrier                                                  // 0000000041B0: BF8A0000
	v_mfma_f32_16x16x16_bf16 v[36:39], a[72:73], a[32:33], v[36:39]// 0000000041B4: D3E10024 1C924148
	s_add_u32 m0, 0, s43                                       // 0000000041BC: 807C2B80
	buffer_load_dword v17, s[4:7], 0 offen lds                 // 0000000041C0: E0511000 80010011
	ds_read_b128 a[0:3], v25 offset:16640                      // 0000000041C8: DBFE4100 00000019
	ds_read_b128 a[4:7], v25 offset:16704                      // 0000000041D0: DBFE4140 04000019
	v_mfma_f32_16x16x16_bf16 v[36:39], a[74:75], a[34:35], v[36:39]// 0000000041D8: D3E10024 1C92454A
	s_add_u32 m0, 0x100, s43                                   // 0000000041E0: 807C2BFF 00000100
	buffer_load_dword v18, s[4:7], 0 offen lds                 // 0000000041E8: E0511000 80010012
	v_mfma_f32_16x16x16_bf16 v[36:39], a[76:77], a[36:37], v[36:39]// 0000000041F0: D3E10024 1C92494C
	s_add_u32 m0, 0x200, s43                                   // 0000000041F8: 807C2BFF 00000200
	buffer_load_dword v19, s[4:7], 0 offen lds                 // 000000004200: E0511000 80010013
	ds_read_b128 a[8:11], v25 offset:17152                     // 000000004208: DBFE4300 08000019
	ds_read_b128 a[12:15], v25 offset:17216                    // 000000004210: DBFE4340 0C000019
	v_mfma_f32_16x16x16_bf16 v[36:39], a[78:79], a[38:39], v[36:39]// 000000004218: D3E10024 1C924D4E
	s_add_u32 m0, 0x300, s43                                   // 000000004220: 807C2BFF 00000300
	buffer_load_dword v20, s[4:7], 0 offen lds                 // 000000004228: E0511000 80010014
	v_mfma_f32_16x16x16_bf16 v[40:43], a[72:73], a[40:41], v[40:43]// 000000004230: D3E10028 1CA25148
	s_add_u32 m0, 0x400, s43                                   // 000000004238: 807C2BFF 00000400
	buffer_load_dword v21, s[4:7], 0 offen lds                 // 000000004240: E0511000 80010015
	ds_read_b128 a[16:19], v25 offset:17664                    // 000000004248: DBFE4500 10000019
	ds_read_b128 a[20:23], v25 offset:17728                    // 000000004250: DBFE4540 14000019
	v_mfma_f32_16x16x16_bf16 v[40:43], a[74:75], a[42:43], v[40:43]// 000000004258: D3E10028 1CA2554A
	s_add_u32 m0, 0x500, s43                                   // 000000004260: 807C2BFF 00000500
	buffer_load_dword v22, s[4:7], 0 offen lds                 // 000000004268: E0511000 80010016
	v_mfma_f32_16x16x16_bf16 v[40:43], a[76:77], a[44:45], v[40:43]// 000000004270: D3E10028 1CA2594C
	s_add_u32 m0, 0x600, s43                                   // 000000004278: 807C2BFF 00000600
	buffer_load_dword v23, s[4:7], 0 offen lds                 // 000000004280: E0511000 80010017
	ds_read_b128 a[24:27], v25 offset:18176                    // 000000004288: DBFE4700 18000019
	ds_read_b128 a[28:31], v25 offset:18240                    // 000000004290: DBFE4740 1C000019
	v_mfma_f32_16x16x16_bf16 v[40:43], a[78:79], a[46:47], v[40:43]// 000000004298: D3E10028 1CA25D4E
	s_add_u32 m0, 0x700, s43                                   // 0000000042A0: 807C2BFF 00000700
	buffer_load_dword v24, s[4:7], 0 offen lds                 // 0000000042A8: E0511000 80010018
	v_mfma_f32_16x16x16_bf16 v[44:47], a[72:73], a[48:49], v[44:47]// 0000000042B0: D3E1002C 1CB26148
	s_add_u32 s31, 0x100, s33                                  // 0000000042B8: 801F21FF 00000100
	s_cmp_lt_u32 s31, s34                                      // 0000000042C0: BF0A221F
	s_cselect_b32 s40, s40, 0                                  // 0000000042C4: 85288028
	s_add_u32 m0, 0, s46                                       // 0000000042C8: 807C2E80
	buffer_load_dword v26, s[8:11], 0 offen lds                // 0000000042CC: E0511000 8002001A
	s_add_u32 s4, s40, s4                                      // 0000000042D4: 80040428
	s_addc_u32 s5, 0, s5                                       // 0000000042D8: 82050580
	ds_read_b128 a[64:67], v34 offset:41600                    // 0000000042DC: DBFEA280 40000022
	ds_read_b128 a[68:71], v34 offset:41664                    // 0000000042E4: DBFEA2C0 44000022
	v_mfma_f32_16x16x16_bf16 v[44:47], a[74:75], a[50:51], v[44:47]// 0000000042EC: D3E1002C 1CB2654A
	s_add_u32 m0, 0x100, s46                                   // 0000000042F4: 807C2EFF 00000100
	buffer_load_dword v27, s[8:11], 0 offen lds                // 0000000042FC: E0511000 8002001B
	v_mfma_f32_16x16x16_bf16 v[44:47], a[76:77], a[52:53], v[44:47]// 000000004304: D3E1002C 1CB2694C
	s_add_u32 m0, 0x200, s46                                   // 00000000430C: 807C2EFF 00000200
	buffer_load_dword v28, s[8:11], 0 offen lds                // 000000004314: E0511000 8002001C
	v_mfma_f32_16x16x16_bf16 v[44:47], a[78:79], a[54:55], v[44:47]// 00000000431C: D3E1002C 1CB26D4E
	s_add_u32 m0, 0x300, s46                                   // 000000004324: 807C2EFF 00000300
	buffer_load_dword v29, s[8:11], 0 offen lds                // 00000000432C: E0511000 8002001D
	v_mfma_f32_16x16x16_bf16 v[48:51], a[72:73], a[56:57], v[48:51]// 000000004334: D3E10030 1CC27148
	s_add_u32 m0, 0x400, s46                                   // 00000000433C: 807C2EFF 00000400
	buffer_load_dword v30, s[8:11], 0 offen lds                // 000000004344: E0511000 8002001E
	v_mfma_f32_16x16x16_bf16 v[48:51], a[74:75], a[58:59], v[48:51]// 00000000434C: D3E10030 1CC2754A
	s_add_u32 m0, 0x500, s46                                   // 000000004354: 807C2EFF 00000500
	buffer_load_dword v31, s[8:11], 0 offen lds                // 00000000435C: E0511000 8002001F
	v_mfma_f32_16x16x16_bf16 v[48:51], a[76:77], a[60:61], v[48:51]// 000000004364: D3E10030 1CC2794C
	s_add_u32 m0, 0x600, s46                                   // 00000000436C: 807C2EFF 00000600
	buffer_load_dword v32, s[8:11], 0 offen lds                // 000000004374: E0511000 80020020
	v_mfma_f32_16x16x16_bf16 v[48:51], a[78:79], a[62:63], v[48:51]// 00000000437C: D3E10030 1CC27D4E
	s_add_u32 m0, 0x700, s46                                   // 000000004384: 807C2EFF 00000700
	buffer_load_dword v33, s[8:11], 0 offen lds                // 00000000438C: E0511000 80020021
	s_add_u32 s31, 0x100, s33                                  // 000000004394: 801F21FF 00000100
	s_cmp_lt_u32 s31, s34                                      // 00000000439C: BF0A221F
	s_cselect_b32 s41, s41, 0                                  // 0000000043A0: 85298029
	s_add_u32 s8, s41, s8                                      // 0000000043A4: 80080829
	s_addc_u32 s9, 0, s9                                       // 0000000043A8: 82090980
	s_addk_i32 s33, 0x40                                       // 0000000043AC: B7210040
	s_cmp_lt_i32 s33, s34                                      // 0000000043B0: BF042221
	s_cbranch_scc0 label_08BB                                  // 0000000043B4: BF84020D
	s_waitcnt vmcnt(16) lgkmcnt(0)                             // 0000000043B8: BF8C4070
	s_barrier                                                  // 0000000043BC: BF8A0000
	v_mfma_f32_16x16x16_bf16 v[36:39], a[64:65], a[0:1], v[36:39]// 0000000043C0: D3E10024 1C920140
	s_add_u32 m0, 0, s44                                       // 0000000043C8: 807C2C80
	buffer_load_dword v17, s[4:7], 0 offen lds                 // 0000000043CC: E0511000 80010011
	ds_read_b128 a[32:35], v25                                 // 0000000043D4: DBFE0000 20000019
	ds_read_b128 a[36:39], v25 offset:64                       // 0000000043DC: DBFE0040 24000019
	v_mfma_f32_16x16x16_bf16 v[36:39], a[66:67], a[2:3], v[36:39]// 0000000043E4: D3E10024 1C920542
	s_add_u32 m0, 0x100, s44                                   // 0000000043EC: 807C2CFF 00000100
	buffer_load_dword v18, s[4:7], 0 offen lds                 // 0000000043F4: E0511000 80010012
	v_mfma_f32_16x16x16_bf16 v[36:39], a[68:69], a[4:5], v[36:39]// 0000000043FC: D3E10024 1C920944
	s_add_u32 m0, 0x200, s44                                   // 000000004404: 807C2CFF 00000200
	buffer_load_dword v19, s[4:7], 0 offen lds                 // 00000000440C: E0511000 80010013
	ds_read_b128 a[40:43], v25 offset:512                      // 000000004414: DBFE0200 28000019
	ds_read_b128 a[44:47], v25 offset:576                      // 00000000441C: DBFE0240 2C000019
	v_mfma_f32_16x16x16_bf16 v[36:39], a[70:71], a[6:7], v[36:39]// 000000004424: D3E10024 1C920D46
	s_add_u32 m0, 0x300, s44                                   // 00000000442C: 807C2CFF 00000300
	buffer_load_dword v20, s[4:7], 0 offen lds                 // 000000004434: E0511000 80010014
	v_mfma_f32_16x16x16_bf16 v[40:43], a[64:65], a[8:9], v[40:43]// 00000000443C: D3E10028 1CA21140
	s_add_u32 m0, 0x400, s44                                   // 000000004444: 807C2CFF 00000400
	buffer_load_dword v21, s[4:7], 0 offen lds                 // 00000000444C: E0511000 80010015
	ds_read_b128 a[48:51], v25 offset:1024                     // 000000004454: DBFE0400 30000019
	ds_read_b128 a[52:55], v25 offset:1088                     // 00000000445C: DBFE0440 34000019
	v_mfma_f32_16x16x16_bf16 v[40:43], a[66:67], a[10:11], v[40:43]// 000000004464: D3E10028 1CA21542
	s_add_u32 m0, 0x500, s44                                   // 00000000446C: 807C2CFF 00000500
	buffer_load_dword v22, s[4:7], 0 offen lds                 // 000000004474: E0511000 80010016
	v_mfma_f32_16x16x16_bf16 v[40:43], a[68:69], a[12:13], v[40:43]// 00000000447C: D3E10028 1CA21944
	s_add_u32 m0, 0x600, s44                                   // 000000004484: 807C2CFF 00000600
	buffer_load_dword v23, s[4:7], 0 offen lds                 // 00000000448C: E0511000 80010017
	ds_read_b128 a[56:59], v25 offset:1536                     // 000000004494: DBFE0600 38000019
	ds_read_b128 a[60:63], v25 offset:1600                     // 00000000449C: DBFE0640 3C000019
	v_mfma_f32_16x16x16_bf16 v[40:43], a[70:71], a[14:15], v[40:43]// 0000000044A4: D3E10028 1CA21D46
	s_add_u32 m0, 0x700, s44                                   // 0000000044AC: 807C2CFF 00000700
	buffer_load_dword v24, s[4:7], 0 offen lds                 // 0000000044B4: E0511000 80010018
	v_mfma_f32_16x16x16_bf16 v[44:47], a[64:65], a[16:17], v[44:47]// 0000000044BC: D3E1002C 1CB22140
	s_add_u32 s31, 0x100, s33                                  // 0000000044C4: 801F21FF 00000100
	s_cmp_lt_u32 s31, s34                                      // 0000000044CC: BF0A221F
	s_cselect_b32 s40, s40, 0                                  // 0000000044D0: 85288028
	s_add_u32 m0, 0, s47                                       // 0000000044D4: 807C2F80
	buffer_load_dword v26, s[8:11], 0 offen lds                // 0000000044D8: E0511000 8002001A
	s_add_u32 s4, s40, s4                                      // 0000000044E0: 80040428
	s_addc_u32 s5, 0, s5                                       // 0000000044E4: 82050580
	ds_read_b128 a[72:75], v34 offset:24960                    // 0000000044E8: DBFE6180 48000022
	ds_read_b128 a[76:79], v34 offset:25024                    // 0000000044F0: DBFE61C0 4C000022
	v_mfma_f32_16x16x16_bf16 v[44:47], a[66:67], a[18:19], v[44:47]// 0000000044F8: D3E1002C 1CB22542
	s_add_u32 m0, 0x100, s47                                   // 000000004500: 807C2FFF 00000100
	buffer_load_dword v27, s[8:11], 0 offen lds                // 000000004508: E0511000 8002001B
	v_mfma_f32_16x16x16_bf16 v[44:47], a[68:69], a[20:21], v[44:47]// 000000004510: D3E1002C 1CB22944
	s_add_u32 m0, 0x200, s47                                   // 000000004518: 807C2FFF 00000200
	buffer_load_dword v28, s[8:11], 0 offen lds                // 000000004520: E0511000 8002001C
	v_mfma_f32_16x16x16_bf16 v[44:47], a[70:71], a[22:23], v[44:47]// 000000004528: D3E1002C 1CB22D46
	s_add_u32 m0, 0x300, s47                                   // 000000004530: 807C2FFF 00000300
	buffer_load_dword v29, s[8:11], 0 offen lds                // 000000004538: E0511000 8002001D
	v_mfma_f32_16x16x16_bf16 v[48:51], a[64:65], a[24:25], v[48:51]// 000000004540: D3E10030 1CC23140
	s_add_u32 m0, 0x400, s47                                   // 000000004548: 807C2FFF 00000400
	buffer_load_dword v30, s[8:11], 0 offen lds                // 000000004550: E0511000 8002001E
	v_mfma_f32_16x16x16_bf16 v[48:51], a[66:67], a[26:27], v[48:51]// 000000004558: D3E10030 1CC23542
	s_add_u32 m0, 0x500, s47                                   // 000000004560: 807C2FFF 00000500
	buffer_load_dword v31, s[8:11], 0 offen lds                // 000000004568: E0511000 8002001F
	v_mfma_f32_16x16x16_bf16 v[48:51], a[68:69], a[28:29], v[48:51]// 000000004570: D3E10030 1CC23944
	s_add_u32 m0, 0x600, s47                                   // 000000004578: 807C2FFF 00000600
	buffer_load_dword v32, s[8:11], 0 offen lds                // 000000004580: E0511000 80020020
	v_mfma_f32_16x16x16_bf16 v[48:51], a[70:71], a[30:31], v[48:51]// 000000004588: D3E10030 1CC23D46
	s_add_u32 m0, 0x700, s47                                   // 000000004590: 807C2FFF 00000700
	buffer_load_dword v33, s[8:11], 0 offen lds                // 000000004598: E0511000 80020021
	s_add_u32 s31, 0x100, s33                                  // 0000000045A0: 801F21FF 00000100
	s_cmp_lt_u32 s31, s34                                      // 0000000045A8: BF0A221F
	s_cselect_b32 s41, s41, 0                                  // 0000000045AC: 85298029
	s_add_u32 s8, s41, s8                                      // 0000000045B0: 80080829
	s_addc_u32 s9, 0, s9                                       // 0000000045B4: 82090980
	s_addk_i32 s33, 0x40                                       // 0000000045B8: B7210040
	s_cmp_lt_i32 s33, s34                                      // 0000000045BC: BF042221
	s_cbranch_scc0 label_08BB                                  // 0000000045C0: BF84018A
	s_waitcnt vmcnt(16) lgkmcnt(0)                             // 0000000045C4: BF8C4070
	s_barrier                                                  // 0000000045C8: BF8A0000
	v_mfma_f32_16x16x16_bf16 v[36:39], a[72:73], a[32:33], v[36:39]// 0000000045CC: D3E10024 1C924148
	s_add_u32 m0, 0, s42                                       // 0000000045D4: 807C2A80
	buffer_load_dword v17, s[4:7], 0 offen lds                 // 0000000045D8: E0511000 80010011
	ds_read_b128 a[0:3], v25 offset:8320                       // 0000000045E0: DBFE2080 00000019
	ds_read_b128 a[4:7], v25 offset:8384                       // 0000000045E8: DBFE20C0 04000019
	v_mfma_f32_16x16x16_bf16 v[36:39], a[74:75], a[34:35], v[36:39]// 0000000045F0: D3E10024 1C92454A
	s_add_u32 m0, 0x100, s42                                   // 0000000045F8: 807C2AFF 00000100
	buffer_load_dword v18, s[4:7], 0 offen lds                 // 000000004600: E0511000 80010012
	v_mfma_f32_16x16x16_bf16 v[36:39], a[76:77], a[36:37], v[36:39]// 000000004608: D3E10024 1C92494C
	s_add_u32 m0, 0x200, s42                                   // 000000004610: 807C2AFF 00000200
	buffer_load_dword v19, s[4:7], 0 offen lds                 // 000000004618: E0511000 80010013
	ds_read_b128 a[8:11], v25 offset:8832                      // 000000004620: DBFE2280 08000019
	ds_read_b128 a[12:15], v25 offset:8896                     // 000000004628: DBFE22C0 0C000019
	v_mfma_f32_16x16x16_bf16 v[36:39], a[78:79], a[38:39], v[36:39]// 000000004630: D3E10024 1C924D4E
	s_add_u32 m0, 0x300, s42                                   // 000000004638: 807C2AFF 00000300
	buffer_load_dword v20, s[4:7], 0 offen lds                 // 000000004640: E0511000 80010014
	v_mfma_f32_16x16x16_bf16 v[40:43], a[72:73], a[40:41], v[40:43]// 000000004648: D3E10028 1CA25148
	s_add_u32 m0, 0x400, s42                                   // 000000004650: 807C2AFF 00000400
	buffer_load_dword v21, s[4:7], 0 offen lds                 // 000000004658: E0511000 80010015
	ds_read_b128 a[16:19], v25 offset:9344                     // 000000004660: DBFE2480 10000019
	ds_read_b128 a[20:23], v25 offset:9408                     // 000000004668: DBFE24C0 14000019
	v_mfma_f32_16x16x16_bf16 v[40:43], a[74:75], a[42:43], v[40:43]// 000000004670: D3E10028 1CA2554A
	s_add_u32 m0, 0x500, s42                                   // 000000004678: 807C2AFF 00000500
	buffer_load_dword v22, s[4:7], 0 offen lds                 // 000000004680: E0511000 80010016
	v_mfma_f32_16x16x16_bf16 v[40:43], a[76:77], a[44:45], v[40:43]// 000000004688: D3E10028 1CA2594C
	s_add_u32 m0, 0x600, s42                                   // 000000004690: 807C2AFF 00000600
	buffer_load_dword v23, s[4:7], 0 offen lds                 // 000000004698: E0511000 80010017
	ds_read_b128 a[24:27], v25 offset:9856                     // 0000000046A0: DBFE2680 18000019
	ds_read_b128 a[28:31], v25 offset:9920                     // 0000000046A8: DBFE26C0 1C000019
	v_mfma_f32_16x16x16_bf16 v[40:43], a[78:79], a[46:47], v[40:43]// 0000000046B0: D3E10028 1CA25D4E
	s_add_u32 m0, 0x700, s42                                   // 0000000046B8: 807C2AFF 00000700
	buffer_load_dword v24, s[4:7], 0 offen lds                 // 0000000046C0: E0511000 80010018
	v_mfma_f32_16x16x16_bf16 v[44:47], a[72:73], a[48:49], v[44:47]// 0000000046C8: D3E1002C 1CB26148
	s_add_u32 s31, 0x100, s33                                  // 0000000046D0: 801F21FF 00000100
	s_cmp_lt_u32 s31, s34                                      // 0000000046D8: BF0A221F
	s_cselect_b32 s40, s40, 0                                  // 0000000046DC: 85288028
	s_add_u32 m0, 0, s45                                       // 0000000046E0: 807C2D80
	buffer_load_dword v26, s[8:11], 0 offen lds                // 0000000046E4: E0511000 8002001A
	s_add_u32 s4, s40, s4                                      // 0000000046EC: 80040428
	s_addc_u32 s5, 0, s5                                       // 0000000046F0: 82050580
	ds_read_b128 a[64:67], v34 offset:33280                    // 0000000046F4: DBFE8200 40000022
	ds_read_b128 a[68:71], v34 offset:33344                    // 0000000046FC: DBFE8240 44000022
	v_mfma_f32_16x16x16_bf16 v[44:47], a[74:75], a[50:51], v[44:47]// 000000004704: D3E1002C 1CB2654A
	s_add_u32 m0, 0x100, s45                                   // 00000000470C: 807C2DFF 00000100
	buffer_load_dword v27, s[8:11], 0 offen lds                // 000000004714: E0511000 8002001B
	v_mfma_f32_16x16x16_bf16 v[44:47], a[76:77], a[52:53], v[44:47]// 00000000471C: D3E1002C 1CB2694C
	s_add_u32 m0, 0x200, s45                                   // 000000004724: 807C2DFF 00000200
	buffer_load_dword v28, s[8:11], 0 offen lds                // 00000000472C: E0511000 8002001C
	v_mfma_f32_16x16x16_bf16 v[44:47], a[78:79], a[54:55], v[44:47]// 000000004734: D3E1002C 1CB26D4E
	s_add_u32 m0, 0x300, s45                                   // 00000000473C: 807C2DFF 00000300
	buffer_load_dword v29, s[8:11], 0 offen lds                // 000000004744: E0511000 8002001D
	v_mfma_f32_16x16x16_bf16 v[48:51], a[72:73], a[56:57], v[48:51]// 00000000474C: D3E10030 1CC27148
	s_add_u32 m0, 0x400, s45                                   // 000000004754: 807C2DFF 00000400
	buffer_load_dword v30, s[8:11], 0 offen lds                // 00000000475C: E0511000 8002001E
	v_mfma_f32_16x16x16_bf16 v[48:51], a[74:75], a[58:59], v[48:51]// 000000004764: D3E10030 1CC2754A
	s_add_u32 m0, 0x500, s45                                   // 00000000476C: 807C2DFF 00000500
	buffer_load_dword v31, s[8:11], 0 offen lds                // 000000004774: E0511000 8002001F
	v_mfma_f32_16x16x16_bf16 v[48:51], a[76:77], a[60:61], v[48:51]// 00000000477C: D3E10030 1CC2794C
	s_add_u32 m0, 0x600, s45                                   // 000000004784: 807C2DFF 00000600
	buffer_load_dword v32, s[8:11], 0 offen lds                // 00000000478C: E0511000 80020020
	v_mfma_f32_16x16x16_bf16 v[48:51], a[78:79], a[62:63], v[48:51]// 000000004794: D3E10030 1CC27D4E
	s_add_u32 m0, 0x700, s45                                   // 00000000479C: 807C2DFF 00000700
	buffer_load_dword v33, s[8:11], 0 offen lds                // 0000000047A4: E0511000 80020021
	s_add_u32 s31, 0x100, s33                                  // 0000000047AC: 801F21FF 00000100
	s_cmp_lt_u32 s31, s34                                      // 0000000047B4: BF0A221F
	s_cselect_b32 s41, s41, 0                                  // 0000000047B8: 85298029
	s_add_u32 s8, s41, s8                                      // 0000000047BC: 80080829
	s_addc_u32 s9, 0, s9                                       // 0000000047C0: 82090980
	s_addk_i32 s33, 0x40                                       // 0000000047C4: B7210040
	s_cmp_lt_i32 s33, s34                                      // 0000000047C8: BF042221
	s_cbranch_scc0 label_08BB                                  // 0000000047CC: BF840107
	s_waitcnt vmcnt(16) lgkmcnt(0)                             // 0000000047D0: BF8C4070
	s_barrier                                                  // 0000000047D4: BF8A0000
	v_mfma_f32_16x16x16_bf16 v[36:39], a[64:65], a[0:1], v[36:39]// 0000000047D8: D3E10024 1C920140
	s_add_u32 m0, 0, s43                                       // 0000000047E0: 807C2B80
	buffer_load_dword v17, s[4:7], 0 offen lds                 // 0000000047E4: E0511000 80010011
	ds_read_b128 a[32:35], v25 offset:16640                    // 0000000047EC: DBFE4100 20000019
	ds_read_b128 a[36:39], v25 offset:16704                    // 0000000047F4: DBFE4140 24000019
	v_mfma_f32_16x16x16_bf16 v[36:39], a[66:67], a[2:3], v[36:39]// 0000000047FC: D3E10024 1C920542
	s_add_u32 m0, 0x100, s43                                   // 000000004804: 807C2BFF 00000100
	buffer_load_dword v18, s[4:7], 0 offen lds                 // 00000000480C: E0511000 80010012
	v_mfma_f32_16x16x16_bf16 v[36:39], a[68:69], a[4:5], v[36:39]// 000000004814: D3E10024 1C920944
	s_add_u32 m0, 0x200, s43                                   // 00000000481C: 807C2BFF 00000200
	buffer_load_dword v19, s[4:7], 0 offen lds                 // 000000004824: E0511000 80010013
	ds_read_b128 a[40:43], v25 offset:17152                    // 00000000482C: DBFE4300 28000019
	ds_read_b128 a[44:47], v25 offset:17216                    // 000000004834: DBFE4340 2C000019
	v_mfma_f32_16x16x16_bf16 v[36:39], a[70:71], a[6:7], v[36:39]// 00000000483C: D3E10024 1C920D46
	s_add_u32 m0, 0x300, s43                                   // 000000004844: 807C2BFF 00000300
	buffer_load_dword v20, s[4:7], 0 offen lds                 // 00000000484C: E0511000 80010014
	v_mfma_f32_16x16x16_bf16 v[40:43], a[64:65], a[8:9], v[40:43]// 000000004854: D3E10028 1CA21140
	s_add_u32 m0, 0x400, s43                                   // 00000000485C: 807C2BFF 00000400
	buffer_load_dword v21, s[4:7], 0 offen lds                 // 000000004864: E0511000 80010015
	ds_read_b128 a[48:51], v25 offset:17664                    // 00000000486C: DBFE4500 30000019
	ds_read_b128 a[52:55], v25 offset:17728                    // 000000004874: DBFE4540 34000019
	v_mfma_f32_16x16x16_bf16 v[40:43], a[66:67], a[10:11], v[40:43]// 00000000487C: D3E10028 1CA21542
	s_add_u32 m0, 0x500, s43                                   // 000000004884: 807C2BFF 00000500
	buffer_load_dword v22, s[4:7], 0 offen lds                 // 00000000488C: E0511000 80010016
	v_mfma_f32_16x16x16_bf16 v[40:43], a[68:69], a[12:13], v[40:43]// 000000004894: D3E10028 1CA21944
	s_add_u32 m0, 0x600, s43                                   // 00000000489C: 807C2BFF 00000600
	buffer_load_dword v23, s[4:7], 0 offen lds                 // 0000000048A4: E0511000 80010017
	ds_read_b128 a[56:59], v25 offset:18176                    // 0000000048AC: DBFE4700 38000019
	ds_read_b128 a[60:63], v25 offset:18240                    // 0000000048B4: DBFE4740 3C000019
	v_mfma_f32_16x16x16_bf16 v[40:43], a[70:71], a[14:15], v[40:43]// 0000000048BC: D3E10028 1CA21D46
	s_add_u32 m0, 0x700, s43                                   // 0000000048C4: 807C2BFF 00000700
	buffer_load_dword v24, s[4:7], 0 offen lds                 // 0000000048CC: E0511000 80010018
	v_mfma_f32_16x16x16_bf16 v[44:47], a[64:65], a[16:17], v[44:47]// 0000000048D4: D3E1002C 1CB22140
	s_add_u32 s31, 0x100, s33                                  // 0000000048DC: 801F21FF 00000100
	s_cmp_lt_u32 s31, s34                                      // 0000000048E4: BF0A221F
	s_cselect_b32 s40, s40, 0                                  // 0000000048E8: 85288028
	s_add_u32 m0, 0, s46                                       // 0000000048EC: 807C2E80
	buffer_load_dword v26, s[8:11], 0 offen lds                // 0000000048F0: E0511000 8002001A
	s_add_u32 s4, s40, s4                                      // 0000000048F8: 80040428
	s_addc_u32 s5, 0, s5                                       // 0000000048FC: 82050580
	ds_read_b128 a[72:75], v34 offset:41600                    // 000000004900: DBFEA280 48000022
	ds_read_b128 a[76:79], v34 offset:41664                    // 000000004908: DBFEA2C0 4C000022
	v_mfma_f32_16x16x16_bf16 v[44:47], a[66:67], a[18:19], v[44:47]// 000000004910: D3E1002C 1CB22542
	s_add_u32 m0, 0x100, s46                                   // 000000004918: 807C2EFF 00000100
	buffer_load_dword v27, s[8:11], 0 offen lds                // 000000004920: E0511000 8002001B
	v_mfma_f32_16x16x16_bf16 v[44:47], a[68:69], a[20:21], v[44:47]// 000000004928: D3E1002C 1CB22944
	s_add_u32 m0, 0x200, s46                                   // 000000004930: 807C2EFF 00000200
	buffer_load_dword v28, s[8:11], 0 offen lds                // 000000004938: E0511000 8002001C
	v_mfma_f32_16x16x16_bf16 v[44:47], a[70:71], a[22:23], v[44:47]// 000000004940: D3E1002C 1CB22D46
	s_add_u32 m0, 0x300, s46                                   // 000000004948: 807C2EFF 00000300
	buffer_load_dword v29, s[8:11], 0 offen lds                // 000000004950: E0511000 8002001D
	v_mfma_f32_16x16x16_bf16 v[48:51], a[64:65], a[24:25], v[48:51]// 000000004958: D3E10030 1CC23140
	s_add_u32 m0, 0x400, s46                                   // 000000004960: 807C2EFF 00000400
	buffer_load_dword v30, s[8:11], 0 offen lds                // 000000004968: E0511000 8002001E
	v_mfma_f32_16x16x16_bf16 v[48:51], a[66:67], a[26:27], v[48:51]// 000000004970: D3E10030 1CC23542
	s_add_u32 m0, 0x500, s46                                   // 000000004978: 807C2EFF 00000500
	buffer_load_dword v31, s[8:11], 0 offen lds                // 000000004980: E0511000 8002001F
	v_mfma_f32_16x16x16_bf16 v[48:51], a[68:69], a[28:29], v[48:51]// 000000004988: D3E10030 1CC23944
	s_add_u32 m0, 0x600, s46                                   // 000000004990: 807C2EFF 00000600
	buffer_load_dword v32, s[8:11], 0 offen lds                // 000000004998: E0511000 80020020
	v_mfma_f32_16x16x16_bf16 v[48:51], a[70:71], a[30:31], v[48:51]// 0000000049A0: D3E10030 1CC23D46
	s_add_u32 m0, 0x700, s46                                   // 0000000049A8: 807C2EFF 00000700
	buffer_load_dword v33, s[8:11], 0 offen lds                // 0000000049B0: E0511000 80020021
	s_add_u32 s31, 0x100, s33                                  // 0000000049B8: 801F21FF 00000100
	s_cmp_lt_u32 s31, s34                                      // 0000000049C0: BF0A221F
	s_cselect_b32 s41, s41, 0                                  // 0000000049C4: 85298029
	s_add_u32 s8, s41, s8                                      // 0000000049C8: 80080829
	s_addc_u32 s9, 0, s9                                       // 0000000049CC: 82090980
	s_addk_i32 s33, 0x40                                       // 0000000049D0: B7210040
	s_cmp_lt_i32 s33, s34                                      // 0000000049D4: BF042221
	s_cbranch_scc0 label_08BB                                  // 0000000049D8: BF840084
	s_waitcnt vmcnt(16) lgkmcnt(0)                             // 0000000049DC: BF8C4070
	s_barrier                                                  // 0000000049E0: BF8A0000
	v_mfma_f32_16x16x16_bf16 v[36:39], a[72:73], a[32:33], v[36:39]// 0000000049E4: D3E10024 1C924148
	s_add_u32 m0, 0, s44                                       // 0000000049EC: 807C2C80
	buffer_load_dword v17, s[4:7], 0 offen lds                 // 0000000049F0: E0511000 80010011
	ds_read_b128 a[0:3], v25                                   // 0000000049F8: DBFE0000 00000019
	ds_read_b128 a[4:7], v25 offset:64                         // 000000004A00: DBFE0040 04000019
	v_mfma_f32_16x16x16_bf16 v[36:39], a[74:75], a[34:35], v[36:39]// 000000004A08: D3E10024 1C92454A
	s_add_u32 m0, 0x100, s44                                   // 000000004A10: 807C2CFF 00000100
	buffer_load_dword v18, s[4:7], 0 offen lds                 // 000000004A18: E0511000 80010012
	v_mfma_f32_16x16x16_bf16 v[36:39], a[76:77], a[36:37], v[36:39]// 000000004A20: D3E10024 1C92494C
	s_add_u32 m0, 0x200, s44                                   // 000000004A28: 807C2CFF 00000200
	buffer_load_dword v19, s[4:7], 0 offen lds                 // 000000004A30: E0511000 80010013
	ds_read_b128 a[8:11], v25 offset:512                       // 000000004A38: DBFE0200 08000019
	ds_read_b128 a[12:15], v25 offset:576                      // 000000004A40: DBFE0240 0C000019
	v_mfma_f32_16x16x16_bf16 v[36:39], a[78:79], a[38:39], v[36:39]// 000000004A48: D3E10024 1C924D4E
	s_add_u32 m0, 0x300, s44                                   // 000000004A50: 807C2CFF 00000300
	buffer_load_dword v20, s[4:7], 0 offen lds                 // 000000004A58: E0511000 80010014
	v_mfma_f32_16x16x16_bf16 v[40:43], a[72:73], a[40:41], v[40:43]// 000000004A60: D3E10028 1CA25148
	s_add_u32 m0, 0x400, s44                                   // 000000004A68: 807C2CFF 00000400
	buffer_load_dword v21, s[4:7], 0 offen lds                 // 000000004A70: E0511000 80010015
	ds_read_b128 a[16:19], v25 offset:1024                     // 000000004A78: DBFE0400 10000019
	ds_read_b128 a[20:23], v25 offset:1088                     // 000000004A80: DBFE0440 14000019
	v_mfma_f32_16x16x16_bf16 v[40:43], a[74:75], a[42:43], v[40:43]// 000000004A88: D3E10028 1CA2554A
	s_add_u32 m0, 0x500, s44                                   // 000000004A90: 807C2CFF 00000500
	buffer_load_dword v22, s[4:7], 0 offen lds                 // 000000004A98: E0511000 80010016
	v_mfma_f32_16x16x16_bf16 v[40:43], a[76:77], a[44:45], v[40:43]// 000000004AA0: D3E10028 1CA2594C
	s_add_u32 m0, 0x600, s44                                   // 000000004AA8: 807C2CFF 00000600
	buffer_load_dword v23, s[4:7], 0 offen lds                 // 000000004AB0: E0511000 80010017
	ds_read_b128 a[24:27], v25 offset:1536                     // 000000004AB8: DBFE0600 18000019
	ds_read_b128 a[28:31], v25 offset:1600                     // 000000004AC0: DBFE0640 1C000019
	v_mfma_f32_16x16x16_bf16 v[40:43], a[78:79], a[46:47], v[40:43]// 000000004AC8: D3E10028 1CA25D4E
	s_add_u32 m0, 0x700, s44                                   // 000000004AD0: 807C2CFF 00000700
	buffer_load_dword v24, s[4:7], 0 offen lds                 // 000000004AD8: E0511000 80010018
	v_mfma_f32_16x16x16_bf16 v[44:47], a[72:73], a[48:49], v[44:47]// 000000004AE0: D3E1002C 1CB26148
	s_add_u32 s31, 0x100, s33                                  // 000000004AE8: 801F21FF 00000100
	s_cmp_lt_u32 s31, s34                                      // 000000004AF0: BF0A221F
	s_cselect_b32 s40, s40, 0                                  // 000000004AF4: 85288028
	s_add_u32 m0, 0, s47                                       // 000000004AF8: 807C2F80
	buffer_load_dword v26, s[8:11], 0 offen lds                // 000000004AFC: E0511000 8002001A
	s_add_u32 s4, s40, s4                                      // 000000004B04: 80040428
	s_addc_u32 s5, 0, s5                                       // 000000004B08: 82050580
	ds_read_b128 a[64:67], v34 offset:24960                    // 000000004B0C: DBFE6180 40000022
	ds_read_b128 a[68:71], v34 offset:25024                    // 000000004B14: DBFE61C0 44000022
	v_mfma_f32_16x16x16_bf16 v[44:47], a[74:75], a[50:51], v[44:47]// 000000004B1C: D3E1002C 1CB2654A
	s_add_u32 m0, 0x100, s47                                   // 000000004B24: 807C2FFF 00000100
	buffer_load_dword v27, s[8:11], 0 offen lds                // 000000004B2C: E0511000 8002001B
	v_mfma_f32_16x16x16_bf16 v[44:47], a[76:77], a[52:53], v[44:47]// 000000004B34: D3E1002C 1CB2694C
	s_add_u32 m0, 0x200, s47                                   // 000000004B3C: 807C2FFF 00000200
	buffer_load_dword v28, s[8:11], 0 offen lds                // 000000004B44: E0511000 8002001C
	v_mfma_f32_16x16x16_bf16 v[44:47], a[78:79], a[54:55], v[44:47]// 000000004B4C: D3E1002C 1CB26D4E
	s_add_u32 m0, 0x300, s47                                   // 000000004B54: 807C2FFF 00000300
	buffer_load_dword v29, s[8:11], 0 offen lds                // 000000004B5C: E0511000 8002001D
	v_mfma_f32_16x16x16_bf16 v[48:51], a[72:73], a[56:57], v[48:51]// 000000004B64: D3E10030 1CC27148
	s_add_u32 m0, 0x400, s47                                   // 000000004B6C: 807C2FFF 00000400
	buffer_load_dword v30, s[8:11], 0 offen lds                // 000000004B74: E0511000 8002001E
	v_mfma_f32_16x16x16_bf16 v[48:51], a[74:75], a[58:59], v[48:51]// 000000004B7C: D3E10030 1CC2754A
	s_add_u32 m0, 0x500, s47                                   // 000000004B84: 807C2FFF 00000500
	buffer_load_dword v31, s[8:11], 0 offen lds                // 000000004B8C: E0511000 8002001F
	v_mfma_f32_16x16x16_bf16 v[48:51], a[76:77], a[60:61], v[48:51]// 000000004B94: D3E10030 1CC2794C
	s_add_u32 m0, 0x600, s47                                   // 000000004B9C: 807C2FFF 00000600
	buffer_load_dword v32, s[8:11], 0 offen lds                // 000000004BA4: E0511000 80020020
	v_mfma_f32_16x16x16_bf16 v[48:51], a[78:79], a[62:63], v[48:51]// 000000004BAC: D3E10030 1CC27D4E
	s_add_u32 m0, 0x700, s47                                   // 000000004BB4: 807C2FFF 00000700
	buffer_load_dword v33, s[8:11], 0 offen lds                // 000000004BBC: E0511000 80020021
	s_add_u32 s31, 0x100, s33                                  // 000000004BC4: 801F21FF 00000100
	s_cmp_lt_u32 s31, s34                                      // 000000004BCC: BF0A221F
	s_cselect_b32 s41, s41, 0                                  // 000000004BD0: 85298029
	s_add_u32 s8, s41, s8                                      // 000000004BD4: 80080829
	s_addc_u32 s9, 0, s9                                       // 000000004BD8: 82090980
	s_addk_i32 s33, 0x40                                       // 000000004BDC: B7210040
	s_cmp_lt_i32 s33, s34                                      // 000000004BE0: BF042221
	s_cbranch_scc0 label_08BB                                  // 000000004BE4: BF840001
	s_branch label_05A8                                        // 000000004BE8: BF82FCED

0000000000004bec <label_08BB>:
	s_cmp_le_u32 s48, 1                                        // 000000004BEC: BF0B8130
	s_cbranch_scc1 label_0C1E                                  // 000000004BF0: BF850361
	s_mov_b32 s31, 64                                          // 000000004BF4: BE9F00C0
	s_cmp_lt_u32 s51, s31                                      // 000000004BF8: BF0A1F33
	s_cbranch_scc1 label_0A0D                                  // 000000004BFC: BF85014D
	v_mov_b32_e32 v5, 0                                        // 000000004C00: 7E0A0280
	s_and_b32 s17, s17, 0xffff                                 // 000000004C04: 8611FF11 0000FFFF
	s_cmp_lt_u32 s50, 1                                        // 000000004C0C: BF0A8132
	s_cbranch_scc0 label_0948                                  // 000000004C10: BF840083
	v_lshrrev_b32_e32 v4, 4, v0                                // 000000004C14: 20080084
	v_mul_u32_u24_e32 v25, 0x44, v4                            // 000000004C18: 103208FF 00000044
	v_and_b32_e32 v4, 15, v0                                   // 000000004C20: 2608008F
	v_mul_lo_u32 v5, 4, v4                                     // 000000004C24: D2850005 00020884
	v_add_u32_e32 v25, v5, v25                                 // 000000004C2C: 68323305
	s_mul_i32 s31, s24, 0x110                                  // 000000004C30: 921FFF18 00000110
	v_add_u32_e32 v25, s31, v25                                // 000000004C38: 6832321F
	v_lshlrev_b32_e32 v25, 2, v25                              // 000000004C3C: 24323282
	v_lshrrev_b32_e32 v4, 2, v0                                // 000000004C40: 20080082
	v_mul_u32_u24_e32 v34, 0x44, v4                            // 000000004C44: 104408FF 00000044
	v_and_b32_e32 v4, 3, v0                                    // 000000004C4C: 26080083
	v_add_u32_e32 v34, v4, v34                                 // 000000004C50: 68444504
	s_mul_i32 s31, s24, 4                                      // 000000004C54: 921F8418
	v_add_u32_e32 v34, s31, v34                                // 000000004C58: 6844441F
	v_lshlrev_b32_e32 v34, 2, v34                              // 000000004C5C: 24444482
	s_waitcnt vmcnt(0) expcnt(0) lgkmcnt(0)                    // 000000004C60: BF8C0000
	s_barrier                                                  // 000000004C64: BF8A0000
	ds_write_b128 v25, v[36:39]                                // 000000004C68: D9BE0000 00002419
	ds_write_b128 v25, v[40:43] offset:4352                    // 000000004C70: D9BE1100 00002819
	ds_write_b128 v25, v[44:47] offset:8704                    // 000000004C78: D9BE2200 00002C19
	ds_write_b128 v25, v[48:51] offset:13056                   // 000000004C80: D9BE3300 00003019
	s_waitcnt lgkmcnt(0)                                       // 000000004C88: BF8CC07F
	s_barrier                                                  // 000000004C8C: BF8A0000
	ds_read_b32 v36, v34                                       // 000000004C90: D86C0000 24000022
	ds_read_b32 v37, v34 offset:64                             // 000000004C98: D86C0040 25000022
	ds_read_b32 v38, v34 offset:128                            // 000000004CA0: D86C0080 26000022
	ds_read_b32 v39, v34 offset:192                            // 000000004CA8: D86C00C0 27000022
	ds_read_b32 v40, v34 offset:4352                           // 000000004CB0: D86C1100 28000022
	ds_read_b32 v41, v34 offset:4416                           // 000000004CB8: D86C1140 29000022
	ds_read_b32 v42, v34 offset:4480                           // 000000004CC0: D86C1180 2A000022
	ds_read_b32 v43, v34 offset:4544                           // 000000004CC8: D86C11C0 2B000022
	ds_read_b32 v44, v34 offset:8704                           // 000000004CD0: D86C2200 2C000022
	ds_read_b32 v45, v34 offset:8768                           // 000000004CD8: D86C2240 2D000022
	ds_read_b32 v46, v34 offset:8832                           // 000000004CE0: D86C2280 2E000022
	ds_read_b32 v47, v34 offset:8896                           // 000000004CE8: D86C22C0 2F000022
	ds_read_b32 v48, v34 offset:13056                          // 000000004CF0: D86C3300 30000022
	ds_read_b32 v49, v34 offset:13120                          // 000000004CF8: D86C3340 31000022
	ds_read_b32 v50, v34 offset:13184                          // 000000004D00: D86C3380 32000022
	ds_read_b32 v51, v34 offset:13248                          // 000000004D08: D86C33C0 33000022
	s_waitcnt lgkmcnt(0)                                       // 000000004D10: BF8CC07F
	s_mul_i32 s31, s30, 4                                      // 000000004D14: 921F841E
	v_mov_b32_e32 v4, v16                                      // 000000004D18: 7E080310
	global_atomic_add_f32 v4, v36, s[16:17]                    // 000000004D1C: DD348000 00102404
	v_add_u32_e64 v4, v4, s31                                  // 000000004D24: D1340004 00003F04
	global_atomic_add_f32 v4, v37, s[16:17]                    // 000000004D2C: DD348000 00102504
	v_add_u32_e64 v4, v4, s31                                  // 000000004D34: D1340004 00003F04
	global_atomic_add_f32 v4, v38, s[16:17]                    // 000000004D3C: DD348000 00102604
	v_add_u32_e64 v4, v4, s31                                  // 000000004D44: D1340004 00003F04
	global_atomic_add_f32 v4, v39, s[16:17]                    // 000000004D4C: DD348000 00102704
	v_add_u32_e64 v4, v4, s31                                  // 000000004D54: D1340004 00003F04
	global_atomic_add_f32 v4, v40, s[16:17]                    // 000000004D5C: DD348000 00102804
	v_add_u32_e64 v4, v4, s31                                  // 000000004D64: D1340004 00003F04
	global_atomic_add_f32 v4, v41, s[16:17]                    // 000000004D6C: DD348000 00102904
	v_add_u32_e64 v4, v4, s31                                  // 000000004D74: D1340004 00003F04
	global_atomic_add_f32 v4, v42, s[16:17]                    // 000000004D7C: DD348000 00102A04
	v_add_u32_e64 v4, v4, s31                                  // 000000004D84: D1340004 00003F04
	global_atomic_add_f32 v4, v43, s[16:17]                    // 000000004D8C: DD348000 00102B04
	v_add_u32_e64 v4, v4, s31                                  // 000000004D94: D1340004 00003F04
	global_atomic_add_f32 v4, v44, s[16:17]                    // 000000004D9C: DD348000 00102C04
	v_add_u32_e64 v4, v4, s31                                  // 000000004DA4: D1340004 00003F04
	global_atomic_add_f32 v4, v45, s[16:17]                    // 000000004DAC: DD348000 00102D04
	v_add_u32_e64 v4, v4, s31                                  // 000000004DB4: D1340004 00003F04
	global_atomic_add_f32 v4, v46, s[16:17]                    // 000000004DBC: DD348000 00102E04
	v_add_u32_e64 v4, v4, s31                                  // 000000004DC4: D1340004 00003F04
	global_atomic_add_f32 v4, v47, s[16:17]                    // 000000004DCC: DD348000 00102F04
	v_add_u32_e64 v4, v4, s31                                  // 000000004DD4: D1340004 00003F04
	global_atomic_add_f32 v4, v48, s[16:17]                    // 000000004DDC: DD348000 00103004
	v_add_u32_e64 v4, v4, s31                                  // 000000004DE4: D1340004 00003F04
	global_atomic_add_f32 v4, v49, s[16:17]                    // 000000004DEC: DD348000 00103104
	v_add_u32_e64 v4, v4, s31                                  // 000000004DF4: D1340004 00003F04
	global_atomic_add_f32 v4, v50, s[16:17]                    // 000000004DFC: DD348000 00103204
	v_add_u32_e64 v4, v4, s31                                  // 000000004E04: D1340004 00003F04
	global_atomic_add_f32 v4, v51, s[16:17]                    // 000000004E0C: DD348000 00103304
	v_add_u32_e64 v4, v4, s31                                  // 000000004E14: D1340004 00003F04
	s_branch label_0CA1                                        // 000000004E1C: BF820359

0000000000004e20 <label_0948>:
	v_lshrrev_b32_e32 v4, 4, v0                                // 000000004E20: 20080084
	v_mul_u32_u24_e32 v25, 34, v4                              // 000000004E24: 103208A2
	v_and_b32_e32 v4, 15, v0                                   // 000000004E28: 2608008F
	v_mul_lo_u32 v5, 2, v4                                     // 000000004E2C: D2850005 00020882
	v_add_u32_e32 v25, v5, v25                                 // 000000004E34: 68323305
	s_mul_i32 s31, s24, 0x88                                   // 000000004E38: 921FFF18 00000088
	v_add_u32_e32 v25, s31, v25                                // 000000004E40: 6832321F
	v_lshlrev_b32_e32 v25, 2, v25                              // 000000004E44: 24323282
	v_and_b32_e32 v4, 31, v0                                   // 000000004E48: 2608009F
	v_lshrrev_b32_e32 v5, 1, v4                                // 000000004E4C: 200A0881
	v_mul_u32_u24_e32 v34, 34, v5                              // 000000004E50: 10440AA2
	v_and_b32_e32 v5, 1, v4                                    // 000000004E54: 260A0881
	v_add_u32_e32 v34, v5, v34                                 // 000000004E58: 68444505
	v_lshrrev_b32_e32 v4, 5, v0                                // 000000004E5C: 20080085
	v_mul_u32_u24_e32 v4, 8, v4                                // 000000004E60: 10080888
	v_add_u32_e32 v34, v4, v34                                 // 000000004E64: 68444504
	s_mul_i32 s31, s24, 2                                      // 000000004E68: 921F8218
	v_add_u32_e32 v34, s31, v34                                // 000000004E6C: 6844441F
	v_lshlrev_b32_e32 v34, 2, v34                              // 000000004E70: 24444482
	s_waitcnt vmcnt(0) expcnt(0) lgkmcnt(0)                    // 000000004E74: BF8C0000
	s_barrier                                                  // 000000004E78: BF8A0000
	v_cmp_u_f32_e64 s[56:57], v36, v36                         // 000000004E7C: D0480038 00024924
	v_add3_u32 v8, v36, v11, 1                                 // 000000004E84: D1FF0008 02061724
	v_cndmask_b32_e64 v4, v8, v10, s[56:57]                    // 000000004E8C: D1000004 00E21508
	v_cmp_u_f32_e64 s[56:57], v37, v37                         // 000000004E94: D0480038 00024B25
	v_add3_u32 v8, v37, v11, 1                                 // 000000004E9C: D1FF0008 02061725
	v_cndmask_b32_e64 v5, v8, v10, s[56:57]                    // 000000004EA4: D1000005 00E21508
	v_perm_b32 v52, v5, v4, s35                                // 000000004EAC: D1ED0034 008E0905
	v_cmp_u_f32_e64 s[56:57], v38, v38                         // 000000004EB4: D0480038 00024D26
	v_add3_u32 v8, v38, v11, 1                                 // 000000004EBC: D1FF0008 02061726
	v_cndmask_b32_e64 v4, v8, v10, s[56:57]                    // 000000004EC4: D1000004 00E21508
	v_cmp_u_f32_e64 s[56:57], v39, v39                         // 000000004ECC: D0480038 00024F27
	v_add3_u32 v8, v39, v11, 1                                 // 000000004ED4: D1FF0008 02061727
	v_cndmask_b32_e64 v5, v8, v10, s[56:57]                    // 000000004EDC: D1000005 00E21508
	v_perm_b32 v53, v5, v4, s35                                // 000000004EE4: D1ED0035 008E0905
	v_cmp_u_f32_e64 s[56:57], v40, v40                         // 000000004EEC: D0480038 00025128
	v_add3_u32 v8, v40, v11, 1                                 // 000000004EF4: D1FF0008 02061728
	v_cndmask_b32_e64 v4, v8, v10, s[56:57]                    // 000000004EFC: D1000004 00E21508
	v_cmp_u_f32_e64 s[56:57], v41, v41                         // 000000004F04: D0480038 00025329
	v_add3_u32 v8, v41, v11, 1                                 // 000000004F0C: D1FF0008 02061729
	v_cndmask_b32_e64 v5, v8, v10, s[56:57]                    // 000000004F14: D1000005 00E21508
	v_perm_b32 v54, v5, v4, s35                                // 000000004F1C: D1ED0036 008E0905
	v_cmp_u_f32_e64 s[56:57], v42, v42                         // 000000004F24: D0480038 0002552A
	v_add3_u32 v8, v42, v11, 1                                 // 000000004F2C: D1FF0008 0206172A
	v_cndmask_b32_e64 v4, v8, v10, s[56:57]                    // 000000004F34: D1000004 00E21508
	v_cmp_u_f32_e64 s[56:57], v43, v43                         // 000000004F3C: D0480038 0002572B
	v_add3_u32 v8, v43, v11, 1                                 // 000000004F44: D1FF0008 0206172B
	v_cndmask_b32_e64 v5, v8, v10, s[56:57]                    // 000000004F4C: D1000005 00E21508
	v_perm_b32 v55, v5, v4, s35                                // 000000004F54: D1ED0037 008E0905
	v_cmp_u_f32_e64 s[56:57], v44, v44                         // 000000004F5C: D0480038 0002592C
	v_add3_u32 v8, v44, v11, 1                                 // 000000004F64: D1FF0008 0206172C
	v_cndmask_b32_e64 v4, v8, v10, s[56:57]                    // 000000004F6C: D1000004 00E21508
	v_cmp_u_f32_e64 s[56:57], v45, v45                         // 000000004F74: D0480038 00025B2D
	v_add3_u32 v8, v45, v11, 1                                 // 000000004F7C: D1FF0008 0206172D
	v_cndmask_b32_e64 v5, v8, v10, s[56:57]                    // 000000004F84: D1000005 00E21508
	v_perm_b32 v56, v5, v4, s35                                // 000000004F8C: D1ED0038 008E0905
	v_cmp_u_f32_e64 s[56:57], v46, v46                         // 000000004F94: D0480038 00025D2E
	v_add3_u32 v8, v46, v11, 1                                 // 000000004F9C: D1FF0008 0206172E
	v_cndmask_b32_e64 v4, v8, v10, s[56:57]                    // 000000004FA4: D1000004 00E21508
	v_cmp_u_f32_e64 s[56:57], v47, v47                         // 000000004FAC: D0480038 00025F2F
	v_add3_u32 v8, v47, v11, 1                                 // 000000004FB4: D1FF0008 0206172F
	v_cndmask_b32_e64 v5, v8, v10, s[56:57]                    // 000000004FBC: D1000005 00E21508
	v_perm_b32 v57, v5, v4, s35                                // 000000004FC4: D1ED0039 008E0905
	v_cmp_u_f32_e64 s[56:57], v48, v48                         // 000000004FCC: D0480038 00026130
	v_add3_u32 v8, v48, v11, 1                                 // 000000004FD4: D1FF0008 02061730
	v_cndmask_b32_e64 v4, v8, v10, s[56:57]                    // 000000004FDC: D1000004 00E21508
	v_cmp_u_f32_e64 s[56:57], v49, v49                         // 000000004FE4: D0480038 00026331
	v_add3_u32 v8, v49, v11, 1                                 // 000000004FEC: D1FF0008 02061731
	v_cndmask_b32_e64 v5, v8, v10, s[56:57]                    // 000000004FF4: D1000005 00E21508
	v_perm_b32 v58, v5, v4, s35                                // 000000004FFC: D1ED003A 008E0905
	v_cmp_u_f32_e64 s[56:57], v50, v50                         // 000000005004: D0480038 00026532
	v_add3_u32 v8, v50, v11, 1                                 // 00000000500C: D1FF0008 02061732
	v_cndmask_b32_e64 v4, v8, v10, s[56:57]                    // 000000005014: D1000004 00E21508
	v_cmp_u_f32_e64 s[56:57], v51, v51                         // 00000000501C: D0480038 00026733
	v_add3_u32 v8, v51, v11, 1                                 // 000000005024: D1FF0008 02061733
	v_cndmask_b32_e64 v5, v8, v10, s[56:57]                    // 00000000502C: D1000005 00E21508
	v_perm_b32 v59, v5, v4, s35                                // 000000005034: D1ED003B 008E0905
	ds_write_b64 v25, v[52:53]                                 // 00000000503C: D89A0000 00003419
	ds_write_b64 v25, v[54:55] offset:2176                     // 000000005044: D89A0880 00003619
	ds_write_b64 v25, v[56:57] offset:4352                     // 00000000504C: D89A1100 00003819
	ds_write_b64 v25, v[58:59] offset:6528                     // 000000005054: D89A1980 00003A19
	s_waitcnt lgkmcnt(0)                                       // 00000000505C: BF8CC07F
	s_barrier                                                  // 000000005060: BF8A0000
	ds_read_b32 v52, v34                                       // 000000005064: D86C0000 34000022
	ds_read_b32 v53, v34 offset:64                             // 00000000506C: D86C0040 35000022
	ds_read_b32 v54, v34 offset:2176                           // 000000005074: D86C0880 36000022
	ds_read_b32 v55, v34 offset:2240                           // 00000000507C: D86C08C0 37000022
	ds_read_b32 v56, v34 offset:4352                           // 000000005084: D86C1100 38000022
	ds_read_b32 v57, v34 offset:4416                           // 00000000508C: D86C1140 39000022
	ds_read_b32 v58, v34 offset:6528                           // 000000005094: D86C1980 3A000022
	ds_read_b32 v59, v34 offset:6592                           // 00000000509C: D86C19C0 3B000022
	s_waitcnt lgkmcnt(0)                                       // 0000000050A4: BF8CC07F
	s_mul_i32 s31, s30, 8                                      // 0000000050A8: 921F881E
	v_mov_b32_e32 v4, v16                                      // 0000000050AC: 7E080310
	global_atomic_pk_add_bf16 v4, v52, s[16:17]                // 0000000050B0: DD488000 00103404
	v_add_u32_e64 v4, v4, s31                                  // 0000000050B8: D1340004 00003F04
	global_atomic_pk_add_bf16 v4, v53, s[16:17]                // 0000000050C0: DD488000 00103504
	v_add_u32_e64 v4, v4, s31                                  // 0000000050C8: D1340004 00003F04
	global_atomic_pk_add_bf16 v4, v54, s[16:17]                // 0000000050D0: DD488000 00103604
	v_add_u32_e64 v4, v4, s31                                  // 0000000050D8: D1340004 00003F04
	global_atomic_pk_add_bf16 v4, v55, s[16:17]                // 0000000050E0: DD488000 00103704
	v_add_u32_e64 v4, v4, s31                                  // 0000000050E8: D1340004 00003F04
	global_atomic_pk_add_bf16 v4, v56, s[16:17]                // 0000000050F0: DD488000 00103804
	v_add_u32_e64 v4, v4, s31                                  // 0000000050F8: D1340004 00003F04
	global_atomic_pk_add_bf16 v4, v57, s[16:17]                // 000000005100: DD488000 00103904
	v_add_u32_e64 v4, v4, s31                                  // 000000005108: D1340004 00003F04
	global_atomic_pk_add_bf16 v4, v58, s[16:17]                // 000000005110: DD488000 00103A04
	v_add_u32_e64 v4, v4, s31                                  // 000000005118: D1340004 00003F04
	global_atomic_pk_add_bf16 v4, v59, s[16:17]                // 000000005120: DD488000 00103B04
	v_add_u32_e64 v4, v4, s31                                  // 000000005128: D1340004 00003F04
	s_branch label_0CA1                                        // 000000005130: BF820294

0000000000005134 <label_0A0D>:
	v_mov_b32_e32 v5, 0                                        // 000000005134: 7E0A0280
	s_and_b32 s17, s17, 0xffff                                 // 000000005138: 8611FF11 0000FFFF
	s_cmp_lt_u32 s50, 1                                        // 000000005140: BF0A8132
	s_cbranch_scc0 label_0ACB                                  // 000000005144: BF8400B9
	v_lshrrev_b32_e32 v4, 4, v0                                // 000000005148: 20080084
	v_mul_u32_u24_e32 v25, 0x44, v4                            // 00000000514C: 103208FF 00000044
	v_and_b32_e32 v4, 15, v0                                   // 000000005154: 2608008F
	v_mul_lo_u32 v5, 4, v4                                     // 000000005158: D2850005 00020884
	v_add_u32_e32 v25, v5, v25                                 // 000000005160: 68323305
	s_mul_i32 s31, s24, 0x110                                  // 000000005164: 921FFF18 00000110
	v_add_u32_e32 v25, s31, v25                                // 00000000516C: 6832321F
	v_lshlrev_b32_e32 v25, 2, v25                              // 000000005170: 24323282
	v_lshrrev_b32_e32 v4, 2, v0                                // 000000005174: 20080082
	v_mul_u32_u24_e32 v34, 0x44, v4                            // 000000005178: 104408FF 00000044
	v_and_b32_e32 v4, 3, v0                                    // 000000005180: 26080083
	v_add_u32_e32 v34, v4, v34                                 // 000000005184: 68444504
	s_mul_i32 s31, s24, 4                                      // 000000005188: 921F8418
	v_add_u32_e32 v34, s31, v34                                // 00000000518C: 6844441F
	v_lshlrev_b32_e32 v34, 2, v34                              // 000000005190: 24444482
	s_lshr_b32 s31, s51, 2                                     // 000000005194: 8F1F8233
	s_and_b32 s32, s51, 3                                      // 000000005198: 86208333
	s_cmp_lt_u32 s24, s32                                      // 00000000519C: BF0A2018
	s_cselect_b32 s32, 1, 0                                    // 0000000051A0: 85208081
	s_add_u32 s51, s31, s32                                    // 0000000051A4: 8033201F
	s_mov_b32 s33, 0                                           // 0000000051A8: BEA10080
	s_waitcnt vmcnt(0) expcnt(0) lgkmcnt(0)                    // 0000000051AC: BF8C0000
	s_barrier                                                  // 0000000051B0: BF8A0000
	ds_write_b128 v25, v[36:39]                                // 0000000051B4: D9BE0000 00002419
	ds_write_b128 v25, v[40:43] offset:4352                    // 0000000051BC: D9BE1100 00002819
	ds_write_b128 v25, v[44:47] offset:8704                    // 0000000051C4: D9BE2200 00002C19
	ds_write_b128 v25, v[48:51] offset:13056                   // 0000000051CC: D9BE3300 00003019
	s_waitcnt lgkmcnt(0)                                       // 0000000051D4: BF8CC07F
	s_barrier                                                  // 0000000051D8: BF8A0000
	ds_read_b32 v36, v34                                       // 0000000051DC: D86C0000 24000022
	ds_read_b32 v37, v34 offset:64                             // 0000000051E4: D86C0040 25000022
	ds_read_b32 v38, v34 offset:128                            // 0000000051EC: D86C0080 26000022
	ds_read_b32 v39, v34 offset:192                            // 0000000051F4: D86C00C0 27000022
	ds_read_b32 v40, v34 offset:4352                           // 0000000051FC: D86C1100 28000022
	ds_read_b32 v41, v34 offset:4416                           // 000000005204: D86C1140 29000022
	ds_read_b32 v42, v34 offset:4480                           // 00000000520C: D86C1180 2A000022
	ds_read_b32 v43, v34 offset:4544                           // 000000005214: D86C11C0 2B000022
	ds_read_b32 v44, v34 offset:8704                           // 00000000521C: D86C2200 2C000022
	ds_read_b32 v45, v34 offset:8768                           // 000000005224: D86C2240 2D000022
	ds_read_b32 v46, v34 offset:8832                           // 00000000522C: D86C2280 2E000022
	ds_read_b32 v47, v34 offset:8896                           // 000000005234: D86C22C0 2F000022
	ds_read_b32 v48, v34 offset:13056                          // 00000000523C: D86C3300 30000022
	ds_read_b32 v49, v34 offset:13120                          // 000000005244: D86C3340 31000022
	ds_read_b32 v50, v34 offset:13184                          // 00000000524C: D86C3380 32000022
	ds_read_b32 v51, v34 offset:13248                          // 000000005254: D86C33C0 33000022
	s_waitcnt lgkmcnt(0)                                       // 00000000525C: BF8CC07F
	s_mul_i32 s31, s30, 4                                      // 000000005260: 921F841E
	v_mov_b32_e32 v4, v16                                      // 000000005264: 7E080310
	s_cmp_lt_i32 s33, s51                                      // 000000005268: BF043321
	s_cbranch_scc0 label_0CA1                                  // 00000000526C: BF840245
	global_atomic_add_f32 v4, v36, s[16:17]                    // 000000005270: DD348000 00102404
	v_add_u32_e64 v4, v4, s31                                  // 000000005278: D1340004 00003F04
	s_addk_i32 s33, 0x1                                        // 000000005280: B7210001
	s_cmp_lt_i32 s33, s51                                      // 000000005284: BF043321
	s_cbranch_scc0 label_0CA1                                  // 000000005288: BF84023E
	global_atomic_add_f32 v4, v37, s[16:17]                    // 00000000528C: DD348000 00102504
	v_add_u32_e64 v4, v4, s31                                  // 000000005294: D1340004 00003F04
	s_addk_i32 s33, 0x1                                        // 00000000529C: B7210001
	s_cmp_lt_i32 s33, s51                                      // 0000000052A0: BF043321
	s_cbranch_scc0 label_0CA1                                  // 0000000052A4: BF840237
	global_atomic_add_f32 v4, v38, s[16:17]                    // 0000000052A8: DD348000 00102604
	v_add_u32_e64 v4, v4, s31                                  // 0000000052B0: D1340004 00003F04
	s_addk_i32 s33, 0x1                                        // 0000000052B8: B7210001
	s_cmp_lt_i32 s33, s51                                      // 0000000052BC: BF043321
	s_cbranch_scc0 label_0CA1                                  // 0000000052C0: BF840230
	global_atomic_add_f32 v4, v39, s[16:17]                    // 0000000052C4: DD348000 00102704
	v_add_u32_e64 v4, v4, s31                                  // 0000000052CC: D1340004 00003F04
	s_addk_i32 s33, 0x1                                        // 0000000052D4: B7210001
	s_cmp_lt_i32 s33, s51                                      // 0000000052D8: BF043321
	s_cbranch_scc0 label_0CA1                                  // 0000000052DC: BF840229
	global_atomic_add_f32 v4, v40, s[16:17]                    // 0000000052E0: DD348000 00102804
	v_add_u32_e64 v4, v4, s31                                  // 0000000052E8: D1340004 00003F04
	s_addk_i32 s33, 0x1                                        // 0000000052F0: B7210001
	s_cmp_lt_i32 s33, s51                                      // 0000000052F4: BF043321
	s_cbranch_scc0 label_0CA1                                  // 0000000052F8: BF840222
	global_atomic_add_f32 v4, v41, s[16:17]                    // 0000000052FC: DD348000 00102904
	v_add_u32_e64 v4, v4, s31                                  // 000000005304: D1340004 00003F04
	s_addk_i32 s33, 0x1                                        // 00000000530C: B7210001
	s_cmp_lt_i32 s33, s51                                      // 000000005310: BF043321
	s_cbranch_scc0 label_0CA1                                  // 000000005314: BF84021B
	global_atomic_add_f32 v4, v42, s[16:17]                    // 000000005318: DD348000 00102A04
	v_add_u32_e64 v4, v4, s31                                  // 000000005320: D1340004 00003F04
	s_addk_i32 s33, 0x1                                        // 000000005328: B7210001
	s_cmp_lt_i32 s33, s51                                      // 00000000532C: BF043321
	s_cbranch_scc0 label_0CA1                                  // 000000005330: BF840214
	global_atomic_add_f32 v4, v43, s[16:17]                    // 000000005334: DD348000 00102B04
	v_add_u32_e64 v4, v4, s31                                  // 00000000533C: D1340004 00003F04
	s_addk_i32 s33, 0x1                                        // 000000005344: B7210001
	s_cmp_lt_i32 s33, s51                                      // 000000005348: BF043321
	s_cbranch_scc0 label_0CA1                                  // 00000000534C: BF84020D
	global_atomic_add_f32 v4, v44, s[16:17]                    // 000000005350: DD348000 00102C04
	v_add_u32_e64 v4, v4, s31                                  // 000000005358: D1340004 00003F04
	s_addk_i32 s33, 0x1                                        // 000000005360: B7210001
	s_cmp_lt_i32 s33, s51                                      // 000000005364: BF043321
	s_cbranch_scc0 label_0CA1                                  // 000000005368: BF840206
	global_atomic_add_f32 v4, v45, s[16:17]                    // 00000000536C: DD348000 00102D04
	v_add_u32_e64 v4, v4, s31                                  // 000000005374: D1340004 00003F04
	s_addk_i32 s33, 0x1                                        // 00000000537C: B7210001
	s_cmp_lt_i32 s33, s51                                      // 000000005380: BF043321
	s_cbranch_scc0 label_0CA1                                  // 000000005384: BF8401FF
	global_atomic_add_f32 v4, v46, s[16:17]                    // 000000005388: DD348000 00102E04
	v_add_u32_e64 v4, v4, s31                                  // 000000005390: D1340004 00003F04
	s_addk_i32 s33, 0x1                                        // 000000005398: B7210001
	s_cmp_lt_i32 s33, s51                                      // 00000000539C: BF043321
	s_cbranch_scc0 label_0CA1                                  // 0000000053A0: BF8401F8
	global_atomic_add_f32 v4, v47, s[16:17]                    // 0000000053A4: DD348000 00102F04
	v_add_u32_e64 v4, v4, s31                                  // 0000000053AC: D1340004 00003F04
	s_addk_i32 s33, 0x1                                        // 0000000053B4: B7210001
	s_cmp_lt_i32 s33, s51                                      // 0000000053B8: BF043321
	s_cbranch_scc0 label_0CA1                                  // 0000000053BC: BF8401F1
	global_atomic_add_f32 v4, v48, s[16:17]                    // 0000000053C0: DD348000 00103004
	v_add_u32_e64 v4, v4, s31                                  // 0000000053C8: D1340004 00003F04
	s_addk_i32 s33, 0x1                                        // 0000000053D0: B7210001
	s_cmp_lt_i32 s33, s51                                      // 0000000053D4: BF043321
	s_cbranch_scc0 label_0CA1                                  // 0000000053D8: BF8401EA
	global_atomic_add_f32 v4, v49, s[16:17]                    // 0000000053DC: DD348000 00103104
	v_add_u32_e64 v4, v4, s31                                  // 0000000053E4: D1340004 00003F04
	s_addk_i32 s33, 0x1                                        // 0000000053EC: B7210001
	s_cmp_lt_i32 s33, s51                                      // 0000000053F0: BF043321
	s_cbranch_scc0 label_0CA1                                  // 0000000053F4: BF8401E3
	global_atomic_add_f32 v4, v50, s[16:17]                    // 0000000053F8: DD348000 00103204
	v_add_u32_e64 v4, v4, s31                                  // 000000005400: D1340004 00003F04
	s_addk_i32 s33, 0x1                                        // 000000005408: B7210001
	s_cmp_lt_i32 s33, s51                                      // 00000000540C: BF043321
	s_cbranch_scc0 label_0CA1                                  // 000000005410: BF8401DC
	global_atomic_add_f32 v4, v51, s[16:17]                    // 000000005414: DD348000 00103304
	v_add_u32_e64 v4, v4, s31                                  // 00000000541C: D1340004 00003F04
	s_addk_i32 s33, 0x1                                        // 000000005424: B7210001
	s_branch label_0CA1                                        // 000000005428: BF8201D6

000000000000542c <label_0ACB>:
	v_lshrrev_b32_e32 v4, 4, v0                                // 00000000542C: 20080084
	v_mul_u32_u24_e32 v25, 34, v4                              // 000000005430: 103208A2
	v_and_b32_e32 v4, 15, v0                                   // 000000005434: 2608008F
	v_mul_lo_u32 v5, 2, v4                                     // 000000005438: D2850005 00020882
	v_add_u32_e32 v25, v5, v25                                 // 000000005440: 68323305
	s_mul_i32 s31, s24, 0x88                                   // 000000005444: 921FFF18 00000088
	v_add_u32_e32 v25, s31, v25                                // 00000000544C: 6832321F
	v_lshlrev_b32_e32 v25, 2, v25                              // 000000005450: 24323282
	v_and_b32_e32 v4, 31, v0                                   // 000000005454: 2608009F
	v_lshrrev_b32_e32 v5, 1, v4                                // 000000005458: 200A0881
	v_mul_u32_u24_e32 v34, 34, v5                              // 00000000545C: 10440AA2
	v_and_b32_e32 v5, 1, v4                                    // 000000005460: 260A0881
	v_add_u32_e32 v34, v5, v34                                 // 000000005464: 68444505
	v_lshrrev_b32_e32 v4, 5, v0                                // 000000005468: 20080085
	v_mul_u32_u24_e32 v4, 8, v4                                // 00000000546C: 10080888
	v_add_u32_e32 v34, v4, v34                                 // 000000005470: 68444504
	s_mul_i32 s31, s24, 2                                      // 000000005474: 921F8218
	v_add_u32_e32 v34, s31, v34                                // 000000005478: 6844441F
	v_lshlrev_b32_e32 v34, 2, v34                              // 00000000547C: 24444482
	s_lshr_b32 s31, s51, 2                                     // 000000005480: 8F1F8233
	s_and_b32 s32, s51, 3                                      // 000000005484: 86208333
	s_cmp_lt_u32 s24, s32                                      // 000000005488: BF0A2018
	s_cselect_b32 s32, 1, 0                                    // 00000000548C: 85208081
	s_add_u32 s51, s31, s32                                    // 000000005490: 8033201F
	s_mov_b32 s33, 0                                           // 000000005494: BEA10080
	s_waitcnt vmcnt(0) expcnt(0) lgkmcnt(0)                    // 000000005498: BF8C0000
	s_barrier                                                  // 00000000549C: BF8A0000
	v_cmp_u_f32_e64 s[56:57], v36, v36                         // 0000000054A0: D0480038 00024924
	v_add3_u32 v8, v36, v11, 1                                 // 0000000054A8: D1FF0008 02061724
	v_cndmask_b32_e64 v4, v8, v10, s[56:57]                    // 0000000054B0: D1000004 00E21508
	v_cmp_u_f32_e64 s[56:57], v37, v37                         // 0000000054B8: D0480038 00024B25
	v_add3_u32 v8, v37, v11, 1                                 // 0000000054C0: D1FF0008 02061725
	v_cndmask_b32_e64 v5, v8, v10, s[56:57]                    // 0000000054C8: D1000005 00E21508
	v_perm_b32 v52, v5, v4, s35                                // 0000000054D0: D1ED0034 008E0905
	v_cmp_u_f32_e64 s[56:57], v38, v38                         // 0000000054D8: D0480038 00024D26
	v_add3_u32 v8, v38, v11, 1                                 // 0000000054E0: D1FF0008 02061726
	v_cndmask_b32_e64 v4, v8, v10, s[56:57]                    // 0000000054E8: D1000004 00E21508
	v_cmp_u_f32_e64 s[56:57], v39, v39                         // 0000000054F0: D0480038 00024F27
	v_add3_u32 v8, v39, v11, 1                                 // 0000000054F8: D1FF0008 02061727
	v_cndmask_b32_e64 v5, v8, v10, s[56:57]                    // 000000005500: D1000005 00E21508
	v_perm_b32 v53, v5, v4, s35                                // 000000005508: D1ED0035 008E0905
	v_cmp_u_f32_e64 s[56:57], v40, v40                         // 000000005510: D0480038 00025128
	v_add3_u32 v8, v40, v11, 1                                 // 000000005518: D1FF0008 02061728
	v_cndmask_b32_e64 v4, v8, v10, s[56:57]                    // 000000005520: D1000004 00E21508
	v_cmp_u_f32_e64 s[56:57], v41, v41                         // 000000005528: D0480038 00025329
	v_add3_u32 v8, v41, v11, 1                                 // 000000005530: D1FF0008 02061729
	v_cndmask_b32_e64 v5, v8, v10, s[56:57]                    // 000000005538: D1000005 00E21508
	v_perm_b32 v54, v5, v4, s35                                // 000000005540: D1ED0036 008E0905
	v_cmp_u_f32_e64 s[56:57], v42, v42                         // 000000005548: D0480038 0002552A
	v_add3_u32 v8, v42, v11, 1                                 // 000000005550: D1FF0008 0206172A
	v_cndmask_b32_e64 v4, v8, v10, s[56:57]                    // 000000005558: D1000004 00E21508
	v_cmp_u_f32_e64 s[56:57], v43, v43                         // 000000005560: D0480038 0002572B
	v_add3_u32 v8, v43, v11, 1                                 // 000000005568: D1FF0008 0206172B
	v_cndmask_b32_e64 v5, v8, v10, s[56:57]                    // 000000005570: D1000005 00E21508
	v_perm_b32 v55, v5, v4, s35                                // 000000005578: D1ED0037 008E0905
	v_cmp_u_f32_e64 s[56:57], v44, v44                         // 000000005580: D0480038 0002592C
	v_add3_u32 v8, v44, v11, 1                                 // 000000005588: D1FF0008 0206172C
	v_cndmask_b32_e64 v4, v8, v10, s[56:57]                    // 000000005590: D1000004 00E21508
	v_cmp_u_f32_e64 s[56:57], v45, v45                         // 000000005598: D0480038 00025B2D
	v_add3_u32 v8, v45, v11, 1                                 // 0000000055A0: D1FF0008 0206172D
	v_cndmask_b32_e64 v5, v8, v10, s[56:57]                    // 0000000055A8: D1000005 00E21508
	v_perm_b32 v56, v5, v4, s35                                // 0000000055B0: D1ED0038 008E0905
	v_cmp_u_f32_e64 s[56:57], v46, v46                         // 0000000055B8: D0480038 00025D2E
	v_add3_u32 v8, v46, v11, 1                                 // 0000000055C0: D1FF0008 0206172E
	v_cndmask_b32_e64 v4, v8, v10, s[56:57]                    // 0000000055C8: D1000004 00E21508
	v_cmp_u_f32_e64 s[56:57], v47, v47                         // 0000000055D0: D0480038 00025F2F
	v_add3_u32 v8, v47, v11, 1                                 // 0000000055D8: D1FF0008 0206172F
	v_cndmask_b32_e64 v5, v8, v10, s[56:57]                    // 0000000055E0: D1000005 00E21508
	v_perm_b32 v57, v5, v4, s35                                // 0000000055E8: D1ED0039 008E0905
	v_cmp_u_f32_e64 s[56:57], v48, v48                         // 0000000055F0: D0480038 00026130
	v_add3_u32 v8, v48, v11, 1                                 // 0000000055F8: D1FF0008 02061730
	v_cndmask_b32_e64 v4, v8, v10, s[56:57]                    // 000000005600: D1000004 00E21508
	v_cmp_u_f32_e64 s[56:57], v49, v49                         // 000000005608: D0480038 00026331
	v_add3_u32 v8, v49, v11, 1                                 // 000000005610: D1FF0008 02061731
	v_cndmask_b32_e64 v5, v8, v10, s[56:57]                    // 000000005618: D1000005 00E21508
	v_perm_b32 v58, v5, v4, s35                                // 000000005620: D1ED003A 008E0905
	v_cmp_u_f32_e64 s[56:57], v50, v50                         // 000000005628: D0480038 00026532
	v_add3_u32 v8, v50, v11, 1                                 // 000000005630: D1FF0008 02061732
	v_cndmask_b32_e64 v4, v8, v10, s[56:57]                    // 000000005638: D1000004 00E21508
	v_cmp_u_f32_e64 s[56:57], v51, v51                         // 000000005640: D0480038 00026733
	v_add3_u32 v8, v51, v11, 1                                 // 000000005648: D1FF0008 02061733
	v_cndmask_b32_e64 v5, v8, v10, s[56:57]                    // 000000005650: D1000005 00E21508
	v_perm_b32 v59, v5, v4, s35                                // 000000005658: D1ED003B 008E0905
	ds_write_b64 v25, v[52:53]                                 // 000000005660: D89A0000 00003419
	ds_write_b64 v25, v[54:55] offset:2176                     // 000000005668: D89A0880 00003619
	ds_write_b64 v25, v[56:57] offset:4352                     // 000000005670: D89A1100 00003819
	ds_write_b64 v25, v[58:59] offset:6528                     // 000000005678: D89A1980 00003A19
	s_waitcnt lgkmcnt(0)                                       // 000000005680: BF8CC07F
	s_barrier                                                  // 000000005684: BF8A0000
	ds_read_b32 v52, v34                                       // 000000005688: D86C0000 34000022
	ds_read_b32 v53, v34 offset:64                             // 000000005690: D86C0040 35000022
	ds_read_b32 v54, v34 offset:2176                           // 000000005698: D86C0880 36000022
	ds_read_b32 v55, v34 offset:2240                           // 0000000056A0: D86C08C0 37000022
	ds_read_b32 v56, v34 offset:4352                           // 0000000056A8: D86C1100 38000022
	ds_read_b32 v57, v34 offset:4416                           // 0000000056B0: D86C1140 39000022
	ds_read_b32 v58, v34 offset:6528                           // 0000000056B8: D86C1980 3A000022
	ds_read_b32 v59, v34 offset:6592                           // 0000000056C0: D86C19C0 3B000022
	s_waitcnt lgkmcnt(0)                                       // 0000000056C8: BF8CC07F
	s_mul_i32 s31, s30, 8                                      // 0000000056CC: 921F881E
	v_mov_b32_e32 v4, v16                                      // 0000000056D0: 7E080310
	s_cmp_lt_i32 s33, s51                                      // 0000000056D4: BF043321
	s_cbranch_scc0 label_0CA1                                  // 0000000056D8: BF84012A
	s_mov_b32 s54, -1                                          // 0000000056DC: BEB600C1
	s_mov_b32 s55, 0                                           // 0000000056E0: BEB70080
	s_mov_b64 exec, s[54:55]                                   // 0000000056E4: BEFE0136
	global_atomic_pk_add_bf16 v4, v52, s[16:17]                // 0000000056E8: DD488000 00103404
	s_addk_i32 s33, 0x1                                        // 0000000056F0: B7210001
	s_cmp_lt_i32 s33, s51                                      // 0000000056F4: BF043321
	s_cbranch_scc0 label_0CA1                                  // 0000000056F8: BF840122
	s_mov_b32 s54, 0                                           // 0000000056FC: BEB60080
	s_mov_b32 s55, -1                                          // 000000005700: BEB700C1
	s_mov_b64 exec, s[54:55]                                   // 000000005704: BEFE0136
	global_atomic_pk_add_bf16 v4, v52, s[16:17]                // 000000005708: DD488000 00103404
	s_addk_i32 s33, 0x1                                        // 000000005710: B7210001
	s_mov_b32 s54, -1                                          // 000000005714: BEB600C1
	s_mov_b32 s55, -1                                          // 000000005718: BEB700C1
	s_mov_b64 exec, s[54:55]                                   // 00000000571C: BEFE0136
	v_add_u32_e64 v4, v4, s31                                  // 000000005720: D1340004 00003F04
	s_cmp_lt_i32 s33, s51                                      // 000000005728: BF043321
	s_cbranch_scc0 label_0CA1                                  // 00000000572C: BF840115
	s_mov_b32 s54, -1                                          // 000000005730: BEB600C1
	s_mov_b32 s55, 0                                           // 000000005734: BEB70080
	s_mov_b64 exec, s[54:55]                                   // 000000005738: BEFE0136
	global_atomic_pk_add_bf16 v4, v53, s[16:17]                // 00000000573C: DD488000 00103504
	s_addk_i32 s33, 0x1                                        // 000000005744: B7210001
	s_cmp_lt_i32 s33, s51                                      // 000000005748: BF043321
	s_cbranch_scc0 label_0CA1                                  // 00000000574C: BF84010D
	s_mov_b32 s54, 0                                           // 000000005750: BEB60080
	s_mov_b32 s55, -1                                          // 000000005754: BEB700C1
	s_mov_b64 exec, s[54:55]                                   // 000000005758: BEFE0136
	global_atomic_pk_add_bf16 v4, v53, s[16:17]                // 00000000575C: DD488000 00103504
	s_addk_i32 s33, 0x1                                        // 000000005764: B7210001
	s_mov_b32 s54, -1                                          // 000000005768: BEB600C1
	s_mov_b32 s55, -1                                          // 00000000576C: BEB700C1
	s_mov_b64 exec, s[54:55]                                   // 000000005770: BEFE0136
	v_add_u32_e64 v4, v4, s31                                  // 000000005774: D1340004 00003F04
	s_cmp_lt_i32 s33, s51                                      // 00000000577C: BF043321
	s_cbranch_scc0 label_0CA1                                  // 000000005780: BF840100
	s_mov_b32 s54, -1                                          // 000000005784: BEB600C1
	s_mov_b32 s55, 0                                           // 000000005788: BEB70080
	s_mov_b64 exec, s[54:55]                                   // 00000000578C: BEFE0136
	global_atomic_pk_add_bf16 v4, v54, s[16:17]                // 000000005790: DD488000 00103604
	s_addk_i32 s33, 0x1                                        // 000000005798: B7210001
	s_cmp_lt_i32 s33, s51                                      // 00000000579C: BF043321
	s_cbranch_scc0 label_0CA1                                  // 0000000057A0: BF8400F8
	s_mov_b32 s54, 0                                           // 0000000057A4: BEB60080
	s_mov_b32 s55, -1                                          // 0000000057A8: BEB700C1
	s_mov_b64 exec, s[54:55]                                   // 0000000057AC: BEFE0136
	global_atomic_pk_add_bf16 v4, v54, s[16:17]                // 0000000057B0: DD488000 00103604
	s_addk_i32 s33, 0x1                                        // 0000000057B8: B7210001
	s_mov_b32 s54, -1                                          // 0000000057BC: BEB600C1
	s_mov_b32 s55, -1                                          // 0000000057C0: BEB700C1
	s_mov_b64 exec, s[54:55]                                   // 0000000057C4: BEFE0136
	v_add_u32_e64 v4, v4, s31                                  // 0000000057C8: D1340004 00003F04
	s_cmp_lt_i32 s33, s51                                      // 0000000057D0: BF043321
	s_cbranch_scc0 label_0CA1                                  // 0000000057D4: BF8400EB
	s_mov_b32 s54, -1                                          // 0000000057D8: BEB600C1
	s_mov_b32 s55, 0                                           // 0000000057DC: BEB70080
	s_mov_b64 exec, s[54:55]                                   // 0000000057E0: BEFE0136
	global_atomic_pk_add_bf16 v4, v55, s[16:17]                // 0000000057E4: DD488000 00103704
	s_addk_i32 s33, 0x1                                        // 0000000057EC: B7210001
	s_cmp_lt_i32 s33, s51                                      // 0000000057F0: BF043321
	s_cbranch_scc0 label_0CA1                                  // 0000000057F4: BF8400E3
	s_mov_b32 s54, 0                                           // 0000000057F8: BEB60080
	s_mov_b32 s55, -1                                          // 0000000057FC: BEB700C1
	s_mov_b64 exec, s[54:55]                                   // 000000005800: BEFE0136
	global_atomic_pk_add_bf16 v4, v55, s[16:17]                // 000000005804: DD488000 00103704
	s_addk_i32 s33, 0x1                                        // 00000000580C: B7210001
	s_mov_b32 s54, -1                                          // 000000005810: BEB600C1
	s_mov_b32 s55, -1                                          // 000000005814: BEB700C1
	s_mov_b64 exec, s[54:55]                                   // 000000005818: BEFE0136
	v_add_u32_e64 v4, v4, s31                                  // 00000000581C: D1340004 00003F04
	s_cmp_lt_i32 s33, s51                                      // 000000005824: BF043321
	s_cbranch_scc0 label_0CA1                                  // 000000005828: BF8400D6
	s_mov_b32 s54, -1                                          // 00000000582C: BEB600C1
	s_mov_b32 s55, 0                                           // 000000005830: BEB70080
	s_mov_b64 exec, s[54:55]                                   // 000000005834: BEFE0136
	global_atomic_pk_add_bf16 v4, v56, s[16:17]                // 000000005838: DD488000 00103804
	s_addk_i32 s33, 0x1                                        // 000000005840: B7210001
	s_cmp_lt_i32 s33, s51                                      // 000000005844: BF043321
	s_cbranch_scc0 label_0CA1                                  // 000000005848: BF8400CE
	s_mov_b32 s54, 0                                           // 00000000584C: BEB60080
	s_mov_b32 s55, -1                                          // 000000005850: BEB700C1
	s_mov_b64 exec, s[54:55]                                   // 000000005854: BEFE0136
	global_atomic_pk_add_bf16 v4, v56, s[16:17]                // 000000005858: DD488000 00103804
	s_addk_i32 s33, 0x1                                        // 000000005860: B7210001
	s_mov_b32 s54, -1                                          // 000000005864: BEB600C1
	s_mov_b32 s55, -1                                          // 000000005868: BEB700C1
	s_mov_b64 exec, s[54:55]                                   // 00000000586C: BEFE0136
	v_add_u32_e64 v4, v4, s31                                  // 000000005870: D1340004 00003F04
	s_cmp_lt_i32 s33, s51                                      // 000000005878: BF043321
	s_cbranch_scc0 label_0CA1                                  // 00000000587C: BF8400C1
	s_mov_b32 s54, -1                                          // 000000005880: BEB600C1
	s_mov_b32 s55, 0                                           // 000000005884: BEB70080
	s_mov_b64 exec, s[54:55]                                   // 000000005888: BEFE0136
	global_atomic_pk_add_bf16 v4, v57, s[16:17]                // 00000000588C: DD488000 00103904
	s_addk_i32 s33, 0x1                                        // 000000005894: B7210001
	s_cmp_lt_i32 s33, s51                                      // 000000005898: BF043321
	s_cbranch_scc0 label_0CA1                                  // 00000000589C: BF8400B9
	s_mov_b32 s54, 0                                           // 0000000058A0: BEB60080
	s_mov_b32 s55, -1                                          // 0000000058A4: BEB700C1
	s_mov_b64 exec, s[54:55]                                   // 0000000058A8: BEFE0136
	global_atomic_pk_add_bf16 v4, v57, s[16:17]                // 0000000058AC: DD488000 00103904
	s_addk_i32 s33, 0x1                                        // 0000000058B4: B7210001
	s_mov_b32 s54, -1                                          // 0000000058B8: BEB600C1
	s_mov_b32 s55, -1                                          // 0000000058BC: BEB700C1
	s_mov_b64 exec, s[54:55]                                   // 0000000058C0: BEFE0136
	v_add_u32_e64 v4, v4, s31                                  // 0000000058C4: D1340004 00003F04
	s_cmp_lt_i32 s33, s51                                      // 0000000058CC: BF043321
	s_cbranch_scc0 label_0CA1                                  // 0000000058D0: BF8400AC
	s_mov_b32 s54, -1                                          // 0000000058D4: BEB600C1
	s_mov_b32 s55, 0                                           // 0000000058D8: BEB70080
	s_mov_b64 exec, s[54:55]                                   // 0000000058DC: BEFE0136
	global_atomic_pk_add_bf16 v4, v58, s[16:17]                // 0000000058E0: DD488000 00103A04
	s_addk_i32 s33, 0x1                                        // 0000000058E8: B7210001
	s_cmp_lt_i32 s33, s51                                      // 0000000058EC: BF043321
	s_cbranch_scc0 label_0CA1                                  // 0000000058F0: BF8400A4
	s_mov_b32 s54, 0                                           // 0000000058F4: BEB60080
	s_mov_b32 s55, -1                                          // 0000000058F8: BEB700C1
	s_mov_b64 exec, s[54:55]                                   // 0000000058FC: BEFE0136
	global_atomic_pk_add_bf16 v4, v58, s[16:17]                // 000000005900: DD488000 00103A04
	s_addk_i32 s33, 0x1                                        // 000000005908: B7210001
	s_mov_b32 s54, -1                                          // 00000000590C: BEB600C1
	s_mov_b32 s55, -1                                          // 000000005910: BEB700C1
	s_mov_b64 exec, s[54:55]                                   // 000000005914: BEFE0136
	v_add_u32_e64 v4, v4, s31                                  // 000000005918: D1340004 00003F04
	s_cmp_lt_i32 s33, s51                                      // 000000005920: BF043321
	s_cbranch_scc0 label_0CA1                                  // 000000005924: BF840097
	s_mov_b32 s54, -1                                          // 000000005928: BEB600C1
	s_mov_b32 s55, 0                                           // 00000000592C: BEB70080
	s_mov_b64 exec, s[54:55]                                   // 000000005930: BEFE0136
	global_atomic_pk_add_bf16 v4, v59, s[16:17]                // 000000005934: DD488000 00103B04
	s_addk_i32 s33, 0x1                                        // 00000000593C: B7210001
	s_cmp_lt_i32 s33, s51                                      // 000000005940: BF043321
	s_cbranch_scc0 label_0CA1                                  // 000000005944: BF84008F
	s_mov_b32 s54, 0                                           // 000000005948: BEB60080
	s_mov_b32 s55, -1                                          // 00000000594C: BEB700C1
	s_mov_b64 exec, s[54:55]                                   // 000000005950: BEFE0136
	global_atomic_pk_add_bf16 v4, v59, s[16:17]                // 000000005954: DD488000 00103B04
	s_addk_i32 s33, 0x1                                        // 00000000595C: B7210001
	s_mov_b32 s54, -1                                          // 000000005960: BEB600C1
	s_mov_b32 s55, -1                                          // 000000005964: BEB700C1
	s_mov_b64 exec, s[54:55]                                   // 000000005968: BEFE0136
	v_add_u32_e64 v4, v4, s31                                  // 00000000596C: D1340004 00003F04
	s_branch label_0CA1                                        // 000000005974: BF820083

0000000000005978 <label_0C1E>:
	s_cmp_lt_u32 s50, 1                                        // 000000005978: BF0A8132
	s_cbranch_scc0 label_0C29                                  // 00000000597C: BF840009
	buffer_store_dwordx4 v[36:39], v12, s[16:19], 0 offen      // 000000005980: E07C1000 8004240C
	buffer_store_dwordx4 v[40:43], v13, s[16:19], 0 offen      // 000000005988: E07C1000 8004280D
	buffer_store_dwordx4 v[44:47], v14, s[16:19], 0 offen      // 000000005990: E07C1000 80042C0E
	buffer_store_dwordx4 v[48:51], v15, s[16:19], 0 offen      // 000000005998: E07C1000 8004300F
	s_branch label_0CA1                                        // 0000000059A0: BF820078

00000000000059a4 <label_0C29>:
	v_cmp_u_f32_e64 s[56:57], v36, v36                         // 0000000059A4: D0480038 00024924
	v_add3_u32 v8, v36, v11, 1                                 // 0000000059AC: D1FF0008 02061724
	v_cndmask_b32_e64 v4, v8, v10, s[56:57]                    // 0000000059B4: D1000004 00E21508
	v_cmp_u_f32_e64 s[56:57], v37, v37                         // 0000000059BC: D0480038 00024B25
	v_add3_u32 v8, v37, v11, 1                                 // 0000000059C4: D1FF0008 02061725
	v_cndmask_b32_e64 v5, v8, v10, s[56:57]                    // 0000000059CC: D1000005 00E21508
	v_perm_b32 v52, v5, v4, s35                                // 0000000059D4: D1ED0034 008E0905
	v_cmp_u_f32_e64 s[56:57], v38, v38                         // 0000000059DC: D0480038 00024D26
	v_add3_u32 v8, v38, v11, 1                                 // 0000000059E4: D1FF0008 02061726
	v_cndmask_b32_e64 v4, v8, v10, s[56:57]                    // 0000000059EC: D1000004 00E21508
	v_cmp_u_f32_e64 s[56:57], v39, v39                         // 0000000059F4: D0480038 00024F27
	v_add3_u32 v8, v39, v11, 1                                 // 0000000059FC: D1FF0008 02061727
	v_cndmask_b32_e64 v5, v8, v10, s[56:57]                    // 000000005A04: D1000005 00E21508
	v_perm_b32 v53, v5, v4, s35                                // 000000005A0C: D1ED0035 008E0905
	buffer_store_dwordx2 v[52:53], v12, s[16:19], 0 offen      // 000000005A14: E0741000 8004340C
	v_cmp_u_f32_e64 s[56:57], v40, v40                         // 000000005A1C: D0480038 00025128
	v_add3_u32 v8, v40, v11, 1                                 // 000000005A24: D1FF0008 02061728
	v_cndmask_b32_e64 v4, v8, v10, s[56:57]                    // 000000005A2C: D1000004 00E21508
	v_cmp_u_f32_e64 s[56:57], v41, v41                         // 000000005A34: D0480038 00025329
	v_add3_u32 v8, v41, v11, 1                                 // 000000005A3C: D1FF0008 02061729
	v_cndmask_b32_e64 v5, v8, v10, s[56:57]                    // 000000005A44: D1000005 00E21508
	v_perm_b32 v54, v5, v4, s35                                // 000000005A4C: D1ED0036 008E0905
	v_cmp_u_f32_e64 s[56:57], v42, v42                         // 000000005A54: D0480038 0002552A
	v_add3_u32 v8, v42, v11, 1                                 // 000000005A5C: D1FF0008 0206172A
	v_cndmask_b32_e64 v4, v8, v10, s[56:57]                    // 000000005A64: D1000004 00E21508
	v_cmp_u_f32_e64 s[56:57], v43, v43                         // 000000005A6C: D0480038 0002572B
	v_add3_u32 v8, v43, v11, 1                                 // 000000005A74: D1FF0008 0206172B
	v_cndmask_b32_e64 v5, v8, v10, s[56:57]                    // 000000005A7C: D1000005 00E21508
	v_perm_b32 v55, v5, v4, s35                                // 000000005A84: D1ED0037 008E0905
	buffer_store_dwordx2 v[54:55], v13, s[16:19], 0 offen      // 000000005A8C: E0741000 8004360D
	v_cmp_u_f32_e64 s[56:57], v44, v44                         // 000000005A94: D0480038 0002592C
	v_add3_u32 v8, v44, v11, 1                                 // 000000005A9C: D1FF0008 0206172C
	v_cndmask_b32_e64 v4, v8, v10, s[56:57]                    // 000000005AA4: D1000004 00E21508
	v_cmp_u_f32_e64 s[56:57], v45, v45                         // 000000005AAC: D0480038 00025B2D
	v_add3_u32 v8, v45, v11, 1                                 // 000000005AB4: D1FF0008 0206172D
	v_cndmask_b32_e64 v5, v8, v10, s[56:57]                    // 000000005ABC: D1000005 00E21508
	v_perm_b32 v56, v5, v4, s35                                // 000000005AC4: D1ED0038 008E0905
	v_cmp_u_f32_e64 s[56:57], v46, v46                         // 000000005ACC: D0480038 00025D2E
	v_add3_u32 v8, v46, v11, 1                                 // 000000005AD4: D1FF0008 0206172E
	v_cndmask_b32_e64 v4, v8, v10, s[56:57]                    // 000000005ADC: D1000004 00E21508
	v_cmp_u_f32_e64 s[56:57], v47, v47                         // 000000005AE4: D0480038 00025F2F
	v_add3_u32 v8, v47, v11, 1                                 // 000000005AEC: D1FF0008 0206172F
	v_cndmask_b32_e64 v5, v8, v10, s[56:57]                    // 000000005AF4: D1000005 00E21508
	v_perm_b32 v57, v5, v4, s35                                // 000000005AFC: D1ED0039 008E0905
	buffer_store_dwordx2 v[56:57], v14, s[16:19], 0 offen      // 000000005B04: E0741000 8004380E
	v_cmp_u_f32_e64 s[56:57], v48, v48                         // 000000005B0C: D0480038 00026130
	v_add3_u32 v8, v48, v11, 1                                 // 000000005B14: D1FF0008 02061730
	v_cndmask_b32_e64 v4, v8, v10, s[56:57]                    // 000000005B1C: D1000004 00E21508
	v_cmp_u_f32_e64 s[56:57], v49, v49                         // 000000005B24: D0480038 00026331
	v_add3_u32 v8, v49, v11, 1                                 // 000000005B2C: D1FF0008 02061731
	v_cndmask_b32_e64 v5, v8, v10, s[56:57]                    // 000000005B34: D1000005 00E21508
	v_perm_b32 v58, v5, v4, s35                                // 000000005B3C: D1ED003A 008E0905
	v_cmp_u_f32_e64 s[56:57], v50, v50                         // 000000005B44: D0480038 00026532
	v_add3_u32 v8, v50, v11, 1                                 // 000000005B4C: D1FF0008 02061732
	v_cndmask_b32_e64 v4, v8, v10, s[56:57]                    // 000000005B54: D1000004 00E21508
	v_cmp_u_f32_e64 s[56:57], v51, v51                         // 000000005B5C: D0480038 00026733
	v_add3_u32 v8, v51, v11, 1                                 // 000000005B64: D1FF0008 02061733
	v_cndmask_b32_e64 v5, v8, v10, s[56:57]                    // 000000005B6C: D1000005 00E21508
	v_perm_b32 v59, v5, v4, s35                                // 000000005B74: D1ED003B 008E0905
	buffer_store_dwordx2 v[58:59], v15, s[16:19], 0 offen      // 000000005B7C: E0741000 80043A0F

0000000000005b84 <label_0CA1>:
	s_waitcnt vmcnt(0) expcnt(0) lgkmcnt(0)                    // 000000005B84: BF8C0000
	s_endpgm                                                   // 000000005B88: BF810000
